;; amdgpu-corpus repo=ROCm/aiter kind=harvested arch=n/a opt=n/a

/root/src/amdgpu-assembly/repos/ROCm__aiter/hsa/gfx950/fmoe/gelu/fmoe_bf16_pertokenInt8_g1u1_vs_multix_gelu_1tg_ps_32x256.co:	file format elf64-amdgpu

Disassembly of section .text:

0000000000002e00 <_ZN5aiter56fmoe_bf16_pertokenInt8_g1u1_vs_multix_gelu_1tg_ps_32x256E>:
	v_lshrrev_b32_e32 v1, 10, v0                               // 000000002E00: 2002008A
	v_lshrrev_b32_e32 v2, 10, v1                               // 000000002E04: 2004028A
	v_and_b32_e32 v2, 0x3ff, v2                                // 000000002E08: 260404FF 000003FF
	v_and_b32_e32 v1, 0x3ff, v1                                // 000000002E10: 260202FF 000003FF
	v_and_b32_e32 v0, 0x3ff, v0                                // 000000002E18: 260000FF 000003FF
	v_lshrrev_b32_e32 v3, 6, v0                                // 000000002E20: 20060086
	v_and_b32_e32 v0, 63, v0                                   // 000000002E24: 260000BF
	s_mov_b32 s2, s2                                           // 000000002E28: BE820002
	s_mov_b32 s3, s3                                           // 000000002E2C: BE830003
	s_mov_b32 s4, s4                                           // 000000002E30: BE840004
	s_mov_b32 s99, s2                                          // 000000002E34: BEE30002
	v_readfirstlane_b32 s7, v3                                 // 000000002E38: 7E0E0503
	s_and_b32 s1, s1, 0xffff                                   // 000000002E3C: 8601FF01 0000FFFF
	s_mov_b32 s96, 0                                           // 000000002E44: BEE00080
	s_mov_b32 s97, 0                                           // 000000002E48: BEE10080
	s_mov_b32 s100, 0                                          // 000000002E4C: BEE40080
	s_load_dword s96, s[0:1], 0x1a0                            // 000000002E50: C0021800 000001A0
	s_load_dword s97, s[0:1], 0x1b0                            // 000000002E58: C0021840 000001B0
	s_waitcnt lgkmcnt(0)                                       // 000000002E60: BF8CC07F
	s_cmp_eq_u32 s96, 0                                        // 000000002E64: BF068060
	s_cbranch_scc1 label_005C                                  // 000000002E68: BF850041
	v_cvt_f32_u32_e32 v46, s97                                 // 000000002E6C: 7E5C0C61
	s_sub_i32 s60, 0, s97                                      // 000000002E70: 81BC6180
	v_rcp_iflag_f32_e32 v46, v46                               // 000000002E74: 7E5C472E
	s_nop 0                                                    // 000000002E78: BF800000
	v_mul_f32_e32 v46, 0x4f7ffffe, v46                         // 000000002E7C: 0A5C5CFF 4F7FFFFE
	v_cvt_u32_f32_e32 v46, v46                                 // 000000002E84: 7E5C0F2E
	v_mul_lo_u32 v47, s60, v46                                 // 000000002E88: D285002F 00025C3C
	v_mul_hi_u32 v47, v46, v47                                 // 000000002E90: D286002F 00025F2E
	v_add_u32_e32 v46, v46, v47                                // 000000002E98: 685C5F2E
	v_mul_hi_u32 v46, s96, v46                                 // 000000002E9C: D286002E 00025C60
	v_mul_lo_u32 v47, v46, s97                                 // 000000002EA4: D285002F 0000C32E
	v_sub_u32_e32 v49, s96, v47                                // 000000002EAC: 6A625E60
	v_add_u32_e32 v48, 1, v46                                  // 000000002EB0: 68605C81
	v_cmp_le_u32_e32 vcc, s97, v49                             // 000000002EB4: 7D966261
	v_subrev_u32_e32 v47, s97, v49                             // 000000002EB8: 6C5E6261
	s_nop 0                                                    // 000000002EBC: BF800000
	v_cndmask_b32_e32 v46, v46, v48, vcc                       // 000000002EC0: 005C612E
	v_cndmask_b32_e32 v49, v49, v47, vcc                       // 000000002EC4: 00625F31
	v_add_u32_e32 v47, 1, v46                                  // 000000002EC8: 685E5C81
	v_cmp_le_u32_e32 vcc, s97, v49                             // 000000002ECC: 7D966261
	s_nop 1                                                    // 000000002ED0: BF800001
	v_cndmask_b32_e32 v49, v46, v47, vcc                       // 000000002ED4: 00625F2E
	s_nop 3                                                    // 000000002ED8: BF800003
	v_readfirstlane_b32 s98, v49                               // 000000002EDC: 7EC40531
	s_nop 3                                                    // 000000002EE0: BF800003

0000000000002ee4 <label_0039>:
	s_mov_b32 s4, 0                                            // 000000002EE4: BE840080
	v_cvt_f32_u32_e32 v46, s97                                 // 000000002EE8: 7E5C0C61
	s_sub_i32 s60, 0, s97                                      // 000000002EEC: 81BC6180
	v_rcp_iflag_f32_e32 v46, v46                               // 000000002EF0: 7E5C472E
	s_nop 0                                                    // 000000002EF4: BF800000
	v_mul_f32_e32 v46, 0x4f7ffffe, v46                         // 000000002EF8: 0A5C5CFF 4F7FFFFE
	v_cvt_u32_f32_e32 v46, v46                                 // 000000002F00: 7E5C0F2E
	v_mul_lo_u32 v47, s60, v46                                 // 000000002F04: D285002F 00025C3C
	v_mul_hi_u32 v47, v46, v47                                 // 000000002F0C: D286002F 00025F2E
	v_add_u32_e32 v46, v46, v47                                // 000000002F14: 685C5F2E
	v_mul_hi_u32 v46, s99, v46                                 // 000000002F18: D286002E 00025C63
	v_mul_lo_u32 v47, v46, s97                                 // 000000002F20: D285002F 0000C32E
	v_sub_u32_e32 v49, s99, v47                                // 000000002F28: 6A625E63
	v_add_u32_e32 v48, 1, v46                                  // 000000002F2C: 68605C81
	v_cmp_le_u32_e32 vcc, s97, v49                             // 000000002F30: 7D966261
	v_subrev_u32_e32 v47, s97, v49                             // 000000002F34: 6C5E6261
	s_nop 0                                                    // 000000002F38: BF800000
	v_cndmask_b32_e32 v46, v46, v48, vcc                       // 000000002F3C: 005C612E
	v_cndmask_b32_e32 v49, v49, v47, vcc                       // 000000002F40: 00625F31
	v_add_u32_e32 v47, 1, v46                                  // 000000002F44: 685E5C81
	v_cmp_le_u32_e32 vcc, s97, v49                             // 000000002F48: 7D966261
	s_nop 1                                                    // 000000002F4C: BF800001
	v_cndmask_b32_e32 v49, v46, v47, vcc                       // 000000002F50: 00625F2E
	s_nop 3                                                    // 000000002F54: BF800003
	v_readfirstlane_b32 s3, v49                                // 000000002F58: 7E060531
	s_nop 3                                                    // 000000002F5C: BF800003
	s_mul_i32 s60, s3, s97                                     // 000000002F60: 923C6103
	s_sub_u32 s2, s99, s60                                     // 000000002F64: 80823C63
	s_mul_i32 s60, s98, s100                                   // 000000002F68: 923C6462
	s_add_i32 s3, s3, s60                                      // 000000002F6C: 81033C03

0000000000002f70 <label_005C>:
	s_and_b32 s1, s1, 0xffff                                   // 000000002F70: 8601FF01 0000FFFF
	s_load_dwordx2 s[8:9], s[0:1], 0x0                         // 000000002F78: C0060200 00000000
	s_load_dwordx2 s[20:21], s[0:1], 0x10                      // 000000002F80: C0060500 00000010
	s_load_dwordx2 s[24:25], s[0:1], 0x20                      // 000000002F88: C0060600 00000020
	s_load_dwordx2 s[50:51], s[0:1], 0x30                      // 000000002F90: C0060C80 00000030
	s_load_dwordx2 s[12:13], s[0:1], 0x40                      // 000000002F98: C0060300 00000040
	s_load_dwordx2 s[28:29], s[0:1], 0x50                      // 000000002FA0: C0060700 00000050
	s_load_dwordx2 s[32:33], s[0:1], 0x60                      // 000000002FA8: C0060800 00000060
	s_load_dwordx2 s[16:17], s[0:1], 0x70                      // 000000002FB0: C0060400 00000070
	s_load_dwordx2 s[36:37], s[0:1], 0x80                      // 000000002FB8: C0060900 00000080
	s_load_dwordx2 s[44:45], s[0:1], 0x90                      // 000000002FC0: C0060B00 00000090
	s_load_dwordx2 s[40:41], s[0:1], 0xa0                      // 000000002FC8: C0060A00 000000A0
	s_load_dwordx2 s[46:47], s[0:1], 0xb0                      // 000000002FD0: C0060B80 000000B0
	s_load_dword s64, s[0:1], 0xc0                             // 000000002FD8: C0021000 000000C0
	s_load_dword s65, s[0:1], 0xd0                             // 000000002FE0: C0021040 000000D0
	s_load_dword s67, s[0:1], 0xf0                             // 000000002FE8: C00210C0 000000F0
	s_load_dword s68, s[0:1], 0x100                            // 000000002FF0: C0021100 00000100
	s_load_dword s69, s[0:1], 0x110                            // 000000002FF8: C0021140 00000110
	s_load_dword s70, s[0:1], 0x120                            // 000000003000: C0021180 00000120
	s_load_dword s71, s[0:1], 0x130                            // 000000003008: C00211C0 00000130
	s_load_dword s72, s[0:1], 0x140                            // 000000003010: C0021200 00000140
	s_load_dword s73, s[0:1], 0x150                            // 000000003018: C0021240 00000150
	s_load_dword s74, s[0:1], 0x160                            // 000000003020: C0021280 00000160
	s_load_dword s75, s[0:1], 0x170                            // 000000003028: C00212C0 00000170
	s_load_dword s76, s[0:1], 0x180                            // 000000003030: C0021300 00000180
	s_load_dword s63, s[0:1], 0x190                            // 000000003038: C0020FC0 00000190
	s_mov_b32 s2, s2                                           // 000000003040: BE820002
	s_mov_b32 s3, s3                                           // 000000003044: BE830003
	s_mov_b32 s4, s4                                           // 000000003048: BE840004
	s_waitcnt lgkmcnt(0)                                       // 00000000304C: BF8CC07F
	s_and_b32 s51, s51, 0xffff                                 // 000000003050: 8633FF33 0000FFFF
	s_load_dword s66, s[50:51], 0x4                            // 000000003058: C0021099 00000004
	s_load_dword s50, s[50:51], 0x0                            // 000000003060: C0020C99 00000000
	s_waitcnt lgkmcnt(0)                                       // 000000003068: BF8CC07F
	s_and_b32 s45, s45, 0xffff                                 // 00000000306C: 862DFF2D 0000FFFF
	s_and_b32 s47, s47, 0xffff                                 // 000000003074: 862FFF2F 0000FFFF
	s_and_b32 s9, s9, 0xffff                                   // 00000000307C: 8609FF09 0000FFFF
	s_mul_i32 s60, s66, s68                                    // 000000003084: 923C4442
	s_mul_i32 s60, s63, s60                                    // 000000003088: 923C3C3F
	s_mul_i32 s61, s66, 4                                      // 00000000308C: 923D8442
	s_mul_i32 s61, s63, s61                                    // 000000003090: 923D3D3F
	s_mov_b32 s22, s60                                         // 000000003094: BE96003C
	s_mov_b32 s26, -16                                         // 000000003098: BE9A00D0
	s_mov_b32 s14, -16                                         // 00000000309C: BE8E00D0
	s_mov_b32 s42, -16                                         // 0000000030A0: BEAA00D0
	s_mov_b32 s30, s61                                         // 0000000030A4: BE9E003D
	s_mov_b32 s34, 0x400                                       // 0000000030A8: BEA200FF 00000400
	s_mov_b32 s38, 0x400                                       // 0000000030B0: BEA600FF 00000400
	s_mov_b32 s18, -16                                         // 0000000030B8: BE9200D0
	s_mov_b32 s23, 0x20000                                     // 0000000030BC: BE9700FF 00020000
	s_mov_b32 s27, 0x20000                                     // 0000000030C4: BE9B00FF 00020000
	s_mov_b32 s15, 0x20000                                     // 0000000030CC: BE8F00FF 00020000
	s_mov_b32 s43, 0x20000                                     // 0000000030D4: BEAB00FF 00020000
	s_mov_b32 s31, 0x20000                                     // 0000000030DC: BE9F00FF 00020000
	s_mov_b32 s35, 0x20000                                     // 0000000030E4: BEA300FF 00020000
	s_mov_b32 s39, 0x20000                                     // 0000000030EC: BEA700FF 00020000
	s_mov_b32 s19, 0x20000                                     // 0000000030F4: BE9300FF 00020000
	s_and_b32 s21, s21, 0xffff                                 // 0000000030FC: 8615FF15 0000FFFF
	s_and_b32 s25, s25, 0xffff                                 // 000000003104: 8619FF19 0000FFFF
	s_and_b32 s13, s13, 0xffff                                 // 00000000310C: 860DFF0D 0000FFFF
	s_and_b32 s41, s41, 0xffff                                 // 000000003114: 8629FF29 0000FFFF
	s_and_b32 s29, s29, 0xffff                                 // 00000000311C: 861DFF1D 0000FFFF
	s_and_b32 s33, s33, 0xffff                                 // 000000003124: 8621FF21 0000FFFF
	s_and_b32 s37, s37, 0xffff                                 // 00000000312C: 8625FF25 0000FFFF
	s_and_b32 s17, s17, 0xffff                                 // 000000003134: 8611FF11 0000FFFF
	s_or_b32 s21, s21, 0x40000                                 // 00000000313C: 8715FF15 00040000
	s_or_b32 s25, s25, 0x40000                                 // 000000003144: 8719FF19 00040000
	s_or_b32 s13, s13, 0x40000                                 // 00000000314C: 870DFF0D 00040000
	s_or_b32 s41, s41, 0x40000                                 // 000000003154: 8729FF29 00040000
	s_or_b32 s29, s29, 0x40000                                 // 00000000315C: 871DFF1D 00040000
	s_or_b32 s33, s33, 0x40000                                 // 000000003164: 8721FF21 00040000
	s_or_b32 s37, s37, 0x40000                                 // 00000000316C: 8725FF25 00040000
	s_or_b32 s17, s17, 0x40000                                 // 000000003174: 8711FF11 00040000
	v_accvgpr_write_b32 a127, 0                                // 00000000317C: D3D9407F 18000080
	v_mov_b32_e32 v223, 0                                      // 000000003184: 7FBE0280
	s_waitcnt lgkmcnt(0)                                       // 000000003188: BF8CC07F
	s_mul_i32 s60, s3, 32                                      // 00000000318C: 923CA003
	s_cmp_lt_i32 s60, s50                                      // 000000003190: BF04323C
	s_cbranch_scc0 label_1C4B                                  // 000000003194: BF841B65
	s_mov_b32 s80, 0                                           // 000000003198: BED00080
	s_mov_b32 s81, s64                                         // 00000000319C: BED10040
	s_mul_i32 s60, s3, 4                                       // 0000000031A0: 923C8403
	s_add_u32 s46, s60, s46                                    // 0000000031A4: 802E2E3C
	s_addc_u32 s47, 0, s47                                     // 0000000031A8: 822F2F80
	s_load_dword s5, s[46:47], 0x0                             // 0000000031AC: C0020157 00000000
	s_mul_i32 s60, s3, 32                                      // 0000000031B4: 923CA003
	s_mul_i32 s60, 4, s60                                      // 0000000031B8: 923C3C84
	v_and_b32_e32 v46, 15, v0                                  // 0000000031BC: 265C008F
	v_lshlrev_b32_e32 v46, 2, v46                              // 0000000031C0: 245C5C82
	v_add_u32_e32 v46, s60, v46                                // 0000000031C4: 685C5C3C
	v_mov_b32_e32 v47, 0                                       // 0000000031C8: 7E5E0280
	global_load_dword v6, v46, s[44:45]                        // 0000000031CC: DC508000 062C002E
	v_add_u32_e32 v46, 64, v46                                 // 0000000031D4: 685C5CC0
	global_load_dword v7, v46, s[44:45]                        // 0000000031D8: DC508000 072C002E
	s_mul_i32 s60, s3, 32                                      // 0000000031E0: 923CA003
	s_add_u32 s60, s7, s60                                     // 0000000031E4: 803C3C07
	s_mul_i32 s60, 4, s60                                      // 0000000031E8: 923C3C84
	s_add_u32 s44, s60, s44                                    // 0000000031EC: 802C2C3C
	s_addc_u32 s45, 0, s45                                     // 0000000031F0: 822D2D80
	s_load_dword s82, s[44:45], 0x0                            // 0000000031F4: C0021496 00000000
	s_load_dword s83, s[44:45], 0x10                           // 0000000031FC: C00214D6 00000010
	s_load_dword s84, s[44:45], 0x20                           // 000000003204: C0021516 00000020
	s_load_dword s85, s[44:45], 0x30                           // 00000000320C: C0021556 00000030
	s_load_dword s86, s[44:45], 0x40                           // 000000003214: C0021596 00000040
	s_load_dword s87, s[44:45], 0x50                           // 00000000321C: C00215D6 00000050
	s_load_dword s88, s[44:45], 0x60                           // 000000003224: C0021616 00000060
	s_load_dword s89, s[44:45], 0x70                           // 00000000322C: C0021656 00000070
	s_waitcnt lgkmcnt(0)                                       // 000000003234: BF8CC07F
	v_lshlrev_b32_e32 v46, 2, v0                               // 000000003238: 245C0082
	s_lshr_b32 s61, s82, 24                                    // 00000000323C: 8F3D9852
	s_mul_i32 s61, s61, s68                                    // 000000003240: 923D443D
	s_mul_i32 s61, s61, s66                                    // 000000003244: 923D423D
	s_and_b32 s82, s82, 0xffffff                               // 000000003248: 8652FF52 00FFFFFF
	s_mul_i32 s60, s82, s68                                    // 000000003250: 923C4452
	s_add_u32 s60, s61, s60                                    // 000000003254: 803C3C3D
	v_add_u32_e64 v24, v46, s60                                // 000000003258: D1340018 0000792E
	s_lshr_b32 s61, s83, 24                                    // 000000003260: 8F3D9853
	s_mul_i32 s61, s61, s68                                    // 000000003264: 923D443D
	s_mul_i32 s61, s61, s66                                    // 000000003268: 923D423D
	s_and_b32 s83, s83, 0xffffff                               // 00000000326C: 8653FF53 00FFFFFF
	s_mul_i32 s60, s83, s68                                    // 000000003274: 923C4453
	s_add_u32 s60, s61, s60                                    // 000000003278: 803C3C3D
	v_add_u32_e64 v25, v46, s60                                // 00000000327C: D1340019 0000792E
	s_lshr_b32 s61, s84, 24                                    // 000000003284: 8F3D9854
	s_mul_i32 s61, s61, s68                                    // 000000003288: 923D443D
	s_mul_i32 s61, s61, s66                                    // 00000000328C: 923D423D
	s_and_b32 s84, s84, 0xffffff                               // 000000003290: 8654FF54 00FFFFFF
	s_mul_i32 s60, s84, s68                                    // 000000003298: 923C4454
	s_add_u32 s60, s61, s60                                    // 00000000329C: 803C3C3D
	v_add_u32_e64 v26, v46, s60                                // 0000000032A0: D134001A 0000792E
	s_lshr_b32 s61, s85, 24                                    // 0000000032A8: 8F3D9855
	s_mul_i32 s61, s61, s68                                    // 0000000032AC: 923D443D
	s_mul_i32 s61, s61, s66                                    // 0000000032B0: 923D423D
	s_and_b32 s85, s85, 0xffffff                               // 0000000032B4: 8655FF55 00FFFFFF
	s_mul_i32 s60, s85, s68                                    // 0000000032BC: 923C4455
	s_add_u32 s60, s61, s60                                    // 0000000032C0: 803C3C3D
	v_add_u32_e64 v27, v46, s60                                // 0000000032C4: D134001B 0000792E
	s_lshr_b32 s61, s86, 24                                    // 0000000032CC: 8F3D9856
	s_mul_i32 s61, s61, s68                                    // 0000000032D0: 923D443D
	s_mul_i32 s61, s61, s66                                    // 0000000032D4: 923D423D
	s_and_b32 s86, s86, 0xffffff                               // 0000000032D8: 8656FF56 00FFFFFF
	s_mul_i32 s60, s86, s68                                    // 0000000032E0: 923C4456
	s_add_u32 s60, s61, s60                                    // 0000000032E4: 803C3C3D
	v_add_u32_e64 v28, v46, s60                                // 0000000032E8: D134001C 0000792E
	s_lshr_b32 s61, s87, 24                                    // 0000000032F0: 8F3D9857
	s_mul_i32 s61, s61, s68                                    // 0000000032F4: 923D443D
	s_mul_i32 s61, s61, s66                                    // 0000000032F8: 923D423D
	s_and_b32 s87, s87, 0xffffff                               // 0000000032FC: 8657FF57 00FFFFFF
	s_mul_i32 s60, s87, s68                                    // 000000003304: 923C4457
	s_add_u32 s60, s61, s60                                    // 000000003308: 803C3C3D
	v_add_u32_e64 v29, v46, s60                                // 00000000330C: D134001D 0000792E
	s_lshr_b32 s61, s88, 24                                    // 000000003314: 8F3D9858
	s_mul_i32 s61, s61, s68                                    // 000000003318: 923D443D
	s_mul_i32 s61, s61, s66                                    // 00000000331C: 923D423D
	s_and_b32 s88, s88, 0xffffff                               // 000000003320: 8658FF58 00FFFFFF
	s_mul_i32 s60, s88, s68                                    // 000000003328: 923C4458
	s_add_u32 s60, s61, s60                                    // 00000000332C: 803C3C3D
	v_add_u32_e64 v30, v46, s60                                // 000000003330: D134001E 0000792E
	s_lshr_b32 s61, s89, 24                                    // 000000003338: 8F3D9859
	s_mul_i32 s61, s61, s68                                    // 00000000333C: 923D443D
	s_mul_i32 s61, s61, s66                                    // 000000003340: 923D423D
	s_and_b32 s89, s89, 0xffffff                               // 000000003344: 8659FF59 00FFFFFF
	s_mul_i32 s60, s89, s68                                    // 00000000334C: 923C4459
	s_add_u32 s60, s61, s60                                    // 000000003350: 803C3C3D
	v_add_u32_e64 v31, v46, s60                                // 000000003354: D134001F 0000792E
	v_lshlrev_b32_e32 v46, 2, v0                               // 00000000335C: 245C0082
	s_mul_i32 s60, s82, s71                                    // 000000003360: 923C4752
	v_add_u32_e64 v80, v46, s60                                // 000000003364: D1340050 0000792E
	v_mov_b32_e32 v81, 0                                       // 00000000336C: 7EA20280
	s_mul_i32 s60, s83, s71                                    // 000000003370: 923C4753
	v_add_u32_e64 v82, v46, s60                                // 000000003374: D1340052 0000792E
	v_mov_b32_e32 v83, 0                                       // 00000000337C: 7EA60280
	s_mul_i32 s60, s84, s71                                    // 000000003380: 923C4754
	v_add_u32_e64 v84, v46, s60                                // 000000003384: D1340054 0000792E
	v_mov_b32_e32 v85, 0                                       // 00000000338C: 7EAA0280
	s_mul_i32 s60, s85, s71                                    // 000000003390: 923C4755
	v_add_u32_e64 v86, v46, s60                                // 000000003394: D1340056 0000792E
	v_mov_b32_e32 v87, 0                                       // 00000000339C: 7EAE0280
	s_mul_i32 s60, s86, s71                                    // 0000000033A0: 923C4756
	v_add_u32_e64 v88, v46, s60                                // 0000000033A4: D1340058 0000792E
	v_mov_b32_e32 v89, 0                                       // 0000000033AC: 7EB20280
	s_mul_i32 s60, s87, s71                                    // 0000000033B0: 923C4757
	v_add_u32_e64 v90, v46, s60                                // 0000000033B4: D134005A 0000792E
	v_mov_b32_e32 v91, 0                                       // 0000000033BC: 7EB60280
	s_mul_i32 s60, s88, s71                                    // 0000000033C0: 923C4758
	v_add_u32_e64 v92, v46, s60                                // 0000000033C4: D134005C 0000792E
	v_mov_b32_e32 v93, 0                                       // 0000000033CC: 7EBA0280
	s_mul_i32 s60, s89, s71                                    // 0000000033D0: 923C4759
	v_add_u32_e64 v94, v46, s60                                // 0000000033D4: D134005E 0000792E
	v_mov_b32_e32 v95, 0                                       // 0000000033DC: 7EBE0280
	s_mul_i32 s60, s7, 0x820                                   // 0000000033E0: 923CFF07 00000820
	s_add_u32 s50, 0, s60                                      // 0000000033E8: 80323C80
	s_add_u32 s51, 0x2080, s50                                 // 0000000033EC: 803332FF 00002080
	v_lshrrev_b32_e32 v46, 4, v0                               // 0000000033F4: 205C0084
	v_lshlrev_b32_e32 v47, 2, v46                              // 0000000033F8: 245E5C82
	v_and_b32_e32 v46, 15, v0                                  // 0000000033FC: 265C008F
	v_lshrrev_b32_e32 v48, 2, v46                              // 000000003400: 20605C82
	v_lshlrev_b32_e32 v48, 6, v48                              // 000000003404: 24606086
	v_add_u32_e32 v47, v48, v47                                // 000000003408: 685E5F30
	v_and_b32_e32 v46, 3, v0                                   // 00000000340C: 265C0083
	v_mul_i32_i24_e32 v48, 0x208, v46                          // 000000003410: 0C605CFF 00000208
	v_add_u32_e32 v47, v48, v47                                // 000000003418: 685E5F30
	v_lshlrev_b32_e32 v2, 2, v47                               // 00000000341C: 24045E82
	s_mul_i32 s60, s2, 0x100                                   // 000000003420: 923CFF02 00000100
	s_mul_i32 s60, s60, s69                                    // 000000003428: 923C453C
	s_mul_i32 s61, s5, s72                                     // 00000000342C: 923D4805
	s_add_u32 s60, s61, s60                                    // 000000003430: 803C3C3D
	s_add_u32 s24, s60, s24                                    // 000000003434: 8018183C
	s_addc_u32 s25, 0, s25                                     // 000000003438: 82191980
	s_mul_i32 s60, s7, 16                                      // 00000000343C: 923C9007
	s_mul_i32 s60, s60, s69                                    // 000000003440: 923C453C
	v_lshlrev_b32_e32 v32, 4, v0                               // 000000003444: 24400084
	v_add_u32_e32 v32, s60, v32                                // 000000003448: 6840403C
	s_mul_i32 s60, 64, s69                                     // 00000000344C: 923C45C0
	v_add_u32_e32 v33, s60, v32                                // 000000003450: 6842403C
	v_add_u32_e32 v34, s60, v33                                // 000000003454: 6844423C
	v_add_u32_e32 v35, s60, v34                                // 000000003458: 6846443C
	s_mov_b32 s92, s24                                         // 00000000345C: BEDC0018
	s_mov_b32 s93, s25                                         // 000000003460: BEDD0019
	s_mov_b32 s94, s26                                         // 000000003464: BEDE001A
	s_mov_b32 s95, s27                                         // 000000003468: BEDF001B
	s_mul_i32 s60, s69, s65                                    // 00000000346C: 923C4145
	s_add_u32 s92, s60, s92                                    // 000000003470: 805C5C3C
	s_addc_u32 s93, 0, s93                                     // 000000003474: 825D5D80
	s_mul_i32 s60, s2, 0x1000                                  // 000000003478: 923CFF02 00001000
	s_mul_i32 s61, s5, s73                                     // 000000003480: 923D4905
	s_add_u32 s60, s61, s60                                    // 000000003484: 803C3C3D
	s_add_u32 s12, s60, s12                                    // 000000003488: 800C0C3C
	s_addc_u32 s13, 0, s13                                     // 00000000348C: 820D0D80
	s_mul_i32 s60, s7, 16                                      // 000000003490: 923C9007
	s_mul_i32 s60, s60, s70                                    // 000000003494: 923C463C
	v_lshlrev_b32_e32 v36, 4, v0                               // 000000003498: 24480084
	v_add_u32_e32 v36, s60, v36                                // 00000000349C: 6848483C
	s_mul_i32 s60, 64, s70                                     // 0000000034A0: 923C46C0
	v_add_u32_e32 v37, s60, v36                                // 0000000034A4: 684A483C
	v_add_u32_e32 v38, s60, v37                                // 0000000034A8: 684C4A3C
	v_add_u32_e32 v39, s60, v38                                // 0000000034AC: 684E4C3C
	s_mul_i32 s60, s70, 0x100                                  // 0000000034B0: 923CFF46 00000100
	s_mov_b32 s78, 0x400                                       // 0000000034B8: BECE00FF 00000400
	s_mul_i32 s61, s78, 3                                      // 0000000034C0: 923D834E
	s_sub_u32 s56, s60, s61                                    // 0000000034C4: 80B83D3C
	s_mul_i32 s60, s3, 32                                      // 0000000034C8: 923CA003
	s_mul_i32 s60, 4, s60                                      // 0000000034CC: 923C3C84
	s_add_u32 s40, s60, s40                                    // 0000000034D0: 8028283C
	s_addc_u32 s41, 0, s41                                     // 0000000034D4: 82292980
	v_and_b32_e32 v46, 15, v0                                  // 0000000034D8: 265C008F
	v_lshlrev_b32_e32 v8, 2, v46                               // 0000000034DC: 24105C82
	v_add_u32_e32 v9, 64, v8                                   // 0000000034E0: 681210C0
	v_lshrrev_b32_e32 v46, 4, v0                               // 0000000034E4: 205C0084
	v_lshlrev_b32_e32 v47, 2, v46                              // 0000000034E8: 245E5C82
	v_and_b32_e32 v46, 15, v0                                  // 0000000034EC: 265C008F
	v_lshrrev_b32_e32 v48, 2, v46                              // 0000000034F0: 20605C82
	v_lshlrev_b32_e32 v48, 6, v48                              // 0000000034F4: 24606086
	v_add_u32_e32 v47, v48, v47                                // 0000000034F8: 685E5F30
	v_and_b32_e32 v46, 3, v0                                   // 0000000034FC: 265C0083
	v_add_u32_e32 v47, v46, v47                                // 000000003500: 685E5F2E
	v_lshlrev_b32_e32 v10, 2, v47                              // 000000003504: 24145E82
	v_add_u32_e32 v11, 0x400, v10                              // 000000003508: 681614FF 00000400
	s_mul_i32 s60, s7, 16                                      // 000000003510: 923C9007
	s_mul_i32 s60, s60, 4                                      // 000000003514: 923C843C
	v_add_u32_e32 v10, s60, v10                                // 000000003518: 6814143C
	v_add_u32_e32 v11, s60, v11                                // 00000000351C: 6816163C
	v_mov_b32_e32 v5, v10                                      // 000000003520: 7E0A030A
	s_mul_i32 s60, s2, 0x100                                   // 000000003524: 923CFF02 00000100
	s_mul_i32 s60, s60, 4                                      // 00000000352C: 923C843C
	s_mul_i32 s61, s5, s74                                     // 000000003530: 923D4A05
	s_add_u32 s61, s61, s60                                    // 000000003534: 803D3C3D
	s_mul_i32 s62, s5, s76                                     // 000000003538: 923E4C05
	s_add_u32 s62, s62, s60                                    // 00000000353C: 803E3C3E
	s_add_u32 s32, s61, s32                                    // 000000003540: 8020203D
	s_addc_u32 s33, 0, s33                                     // 000000003544: 82212180
	s_add_u32 s36, s62, s36                                    // 000000003548: 8024243E
	s_addc_u32 s37, 0, s37                                     // 00000000354C: 82252580
	s_mul_i32 s60, s5, s75                                     // 000000003550: 923C4B05
	s_add_u32 s16, s60, s16                                    // 000000003554: 8010103C
	s_addc_u32 s17, 0, s17                                     // 000000003558: 82111180
	s_mov_b32 s57, 0x100                                       // 00000000355C: BEB900FF 00000100
	s_mov_b32 s58, 0x1000                                      // 000000003564: BEBA00FF 00001000
	s_mov_b32 s79, 0x400                                       // 00000000356C: BECF00FF 00000400
	s_mov_b32 s59, 0x200                                       // 000000003574: BEBB00FF 00000200
	s_mov_b32 s90, s58                                         // 00000000357C: BEDA003A
	s_mov_b32 s52, 0x7060302                                   // 000000003580: BEB400FF 07060302
	s_mov_b32 s53, 0x400                                       // 000000003588: BEB500FF 00000400
	s_mov_b32 s54, 0x40100                                     // 000000003590: BEB600FF 00040100
	s_mov_b32 s55, 0x4020100                                   // 000000003598: BEB700FF 04020100
	s_mov_b32 s6, 0x3fb8aa3b                                   // 0000000035A0: BE8600FF 3FB8AA3B
	s_mov_b32 s77, 0xbd92220c                                  // 0000000035A8: BECD00FF BD92220C
	s_mov_b32 m0, s50                                          // 0000000035B0: BEFC0032
	v_mov_b32_e32 v1, 0xbfcc4231                               // 0000000035B4: 7E0202FF BFCC4231
	v_mov_b32_e32 v41, 0xffff0000                              // 0000000035BC: 7E5202FF FFFF0000
	v_mov_b32_e32 v42, 0x7fff0000                              // 0000000035C4: 7E5402FF 7FFF0000
	v_mov_b32_e32 v43, 0x7fff                                  // 0000000035CC: 7E5602FF 00007FFF
	s_waitcnt vmcnt(0) expcnt(0) lgkmcnt(0)                    // 0000000035D4: BF8C0000
	v_lshrrev_b32_e32 v46, 24, v6                              // 0000000035D8: 205C0C98
	v_mul_i32_i24_e32 v46, s66, v46                            // 0000000035DC: 0C5C5C42
	v_and_b32_e32 v47, 0xffffff, v6                            // 0000000035E0: 265E0CFF 00FFFFFF
	v_add_u32_e32 v6, v46, v47                                 // 0000000035E8: 680C5F2E
	v_lshrrev_b32_e32 v46, 24, v7                              // 0000000035EC: 205C0E98
	v_mul_i32_i24_e32 v46, s66, v46                            // 0000000035F0: 0C5C5C42
	v_and_b32_e32 v47, 0xffffff, v7                            // 0000000035F4: 265E0EFF 00FFFFFF
	v_add_u32_e32 v7, v46, v47                                 // 0000000035FC: 680E5F2E
	v_lshlrev_b32_e32 v6, 2, v6                                // 000000003600: 240C0C82
	v_lshlrev_b32_e32 v7, 2, v7                                // 000000003604: 240E0E82
	buffer_load_dword v13, v6, s[28:31], 0 offen               // 000000003608: E0501000 80070D06
	buffer_load_dword v14, v7, s[28:31], 0 offen               // 000000003610: E0501000 80070E07
	buffer_load_dword v15, v10, s[32:35], 0 offen              // 000000003618: E0501000 80080F0A
	buffer_load_dword v16, v11, s[32:35], 0 offen              // 000000003620: E0501000 8008100B
	s_mul_i32 s60, 4, s65                                      // 000000003628: 923C4184
	s_add_u32 s32, s60, s32                                    // 00000000362C: 8020203C
	s_addc_u32 s33, 0, s33                                     // 000000003630: 82212180
	buffer_load_dword v44, v10, s[32:35], 0 offen              // 000000003634: E0501000 80082C0A
	buffer_load_dword v45, v11, s[32:35], 0 offen              // 00000000363C: E0501000 80082D0B
	buffer_load_dword v16, v10, s[36:39], 0 offen              // 000000003644: E0501000 8009100A
	buffer_load_dword v17, v11, s[36:39], 0 offen              // 00000000364C: E0501000 8009110B
	buffer_load_dword v17, v8, s[40:43], 0 offen               // 000000003654: E0501000 800A1108
	buffer_load_dword v18, v9, s[40:43], 0 offen               // 00000000365C: E0501000 800A1209
	buffer_load_dword v24, s[20:23], 0 offen lds               // 000000003664: E0511000 80050018
	s_add_u32 m0, 0x100, s50                                   // 00000000366C: 807C32FF 00000100
	buffer_load_dword v25, s[20:23], 0 offen lds               // 000000003674: E0511000 80050019
	s_add_u32 m0, 0x200, s50                                   // 00000000367C: 807C32FF 00000200
	buffer_load_dword v26, s[20:23], 0 offen lds               // 000000003684: E0511000 8005001A
	s_add_u32 m0, 0x300, s50                                   // 00000000368C: 807C32FF 00000300
	buffer_load_dword v27, s[20:23], 0 offen lds               // 000000003694: E0511000 8005001B
	s_add_u32 m0, 0x400, s50                                   // 00000000369C: 807C32FF 00000400
	buffer_load_dword v28, s[20:23], 0 offen lds               // 0000000036A4: E0511000 8005001C
	s_add_u32 m0, 0x500, s50                                   // 0000000036AC: 807C32FF 00000500
	buffer_load_dword v29, s[20:23], 0 offen lds               // 0000000036B4: E0511000 8005001D
	s_add_u32 m0, 0x600, s50                                   // 0000000036BC: 807C32FF 00000600
	buffer_load_dword v30, s[20:23], 0 offen lds               // 0000000036C4: E0511000 8005001E
	s_add_u32 m0, 0x700, s50                                   // 0000000036CC: 807C32FF 00000700
	buffer_load_dword v31, s[20:23], 0 offen lds               // 0000000036D4: E0511000 8005001F
	s_add_u32 m0, 0, s51                                       // 0000000036DC: 807C3380
	s_add_u32 s20, s57, s20                                    // 0000000036E0: 80141439
	s_addc_u32 s21, 0, s21                                     // 0000000036E4: 82151580
	buffer_load_dwordx4 a[0:3], v32, s[24:27], 0 offen         // 0000000036E8: E05C1000 80860020
	buffer_load_dwordx4 a[4:7], v32, s[24:27], 0 offen offset:1024// 0000000036F0: E05C1400 80860420
	buffer_load_dwordx4 a[8:11], v32, s[24:27], 0 offen offset:2048// 0000000036F8: E05C1800 80860820
	buffer_load_dwordx4 a[12:15], v32, s[24:27], 0 offen offset:3072// 000000003700: E05C1C00 80860C20
	buffer_load_dwordx4 a[16:19], v33, s[24:27], 0 offen       // 000000003708: E05C1000 80861021
	buffer_load_dwordx4 a[20:23], v33, s[24:27], 0 offen offset:1024// 000000003710: E05C1400 80861421
	buffer_load_dwordx4 a[24:27], v33, s[24:27], 0 offen offset:2048// 000000003718: E05C1800 80861821
	buffer_load_dwordx4 a[28:31], v33, s[24:27], 0 offen offset:3072// 000000003720: E05C1C00 80861C21
	buffer_load_dwordx4 a[32:35], v34, s[24:27], 0 offen       // 000000003728: E05C1000 80862022
	buffer_load_dwordx4 a[36:39], v34, s[24:27], 0 offen offset:1024// 000000003730: E05C1400 80862422
	buffer_load_dwordx4 a[40:43], v34, s[24:27], 0 offen offset:2048// 000000003738: E05C1800 80862822
	buffer_load_dwordx4 a[44:47], v34, s[24:27], 0 offen offset:3072// 000000003740: E05C1C00 80862C22
	buffer_load_dwordx4 a[48:51], v35, s[24:27], 0 offen       // 000000003748: E05C1000 80863023
	buffer_load_dwordx4 a[52:55], v35, s[24:27], 0 offen offset:1024// 000000003750: E05C1400 80863423
	buffer_load_dwordx4 a[56:59], v35, s[24:27], 0 offen offset:2048// 000000003758: E05C1800 80863823
	buffer_load_dwordx4 a[60:63], v35, s[24:27], 0 offen offset:3072// 000000003760: E05C1C00 80863C23
	s_add_u32 s24, s58, s24                                    // 000000003768: 8018183A
	s_addc_u32 s25, 0, s25                                     // 00000000376C: 82191980
	v_mov_b32_e32 v128, 0                                      // 000000003770: 7F000280
	v_mov_b32_e32 v64, 0                                       // 000000003774: 7E800280
	v_mov_b32_e32 v129, 0                                      // 000000003778: 7F020280
	v_mov_b32_e32 v65, 0                                       // 00000000377C: 7E820280
	v_mov_b32_e32 v130, 0                                      // 000000003780: 7F040280
	v_mov_b32_e32 v66, 0                                       // 000000003784: 7E840280
	v_mov_b32_e32 v131, 0                                      // 000000003788: 7F060280
	v_mov_b32_e32 v67, 0                                       // 00000000378C: 7E860280
	v_mov_b32_e32 v132, 0                                      // 000000003790: 7F080280
	v_mov_b32_e32 v68, 0                                       // 000000003794: 7E880280
	v_mov_b32_e32 v133, 0                                      // 000000003798: 7F0A0280
	v_mov_b32_e32 v69, 0                                       // 00000000379C: 7E8A0280
	v_mov_b32_e32 v134, 0                                      // 0000000037A0: 7F0C0280
	v_mov_b32_e32 v70, 0                                       // 0000000037A4: 7E8C0280
	v_mov_b32_e32 v135, 0                                      // 0000000037A8: 7F0E0280
	v_mov_b32_e32 v71, 0                                       // 0000000037AC: 7E8E0280
	v_mov_b32_e32 v136, 0                                      // 0000000037B0: 7F100280
	v_mov_b32_e32 v72, 0                                       // 0000000037B4: 7E900280
	v_mov_b32_e32 v137, 0                                      // 0000000037B8: 7F120280
	v_mov_b32_e32 v73, 0                                       // 0000000037BC: 7E920280
	v_mov_b32_e32 v138, 0                                      // 0000000037C0: 7F140280
	v_mov_b32_e32 v74, 0                                       // 0000000037C4: 7E940280
	v_mov_b32_e32 v139, 0                                      // 0000000037C8: 7F160280
	v_mov_b32_e32 v75, 0                                       // 0000000037CC: 7E960280
	v_mov_b32_e32 v140, 0                                      // 0000000037D0: 7F180280
	v_mov_b32_e32 v76, 0                                       // 0000000037D4: 7E980280
	v_mov_b32_e32 v141, 0                                      // 0000000037D8: 7F1A0280
	v_mov_b32_e32 v77, 0                                       // 0000000037DC: 7E9A0280
	v_mov_b32_e32 v142, 0                                      // 0000000037E0: 7F1C0280
	v_mov_b32_e32 v78, 0                                       // 0000000037E4: 7E9C0280
	v_mov_b32_e32 v143, 0                                      // 0000000037E8: 7F1E0280
	v_mov_b32_e32 v79, 0                                       // 0000000037EC: 7E9E0280
	v_mov_b32_e32 v144, 0                                      // 0000000037F0: 7F200280
	v_mov_b32_e32 v80, 0                                       // 0000000037F4: 7EA00280
	v_mov_b32_e32 v145, 0                                      // 0000000037F8: 7F220280
	v_mov_b32_e32 v81, 0                                       // 0000000037FC: 7EA20280
	v_mov_b32_e32 v146, 0                                      // 000000003800: 7F240280
	v_mov_b32_e32 v82, 0                                       // 000000003804: 7EA40280
	v_mov_b32_e32 v147, 0                                      // 000000003808: 7F260280
	v_mov_b32_e32 v83, 0                                       // 00000000380C: 7EA60280
	v_mov_b32_e32 v148, 0                                      // 000000003810: 7F280280
	v_mov_b32_e32 v84, 0                                       // 000000003814: 7EA80280
	v_mov_b32_e32 v149, 0                                      // 000000003818: 7F2A0280
	v_mov_b32_e32 v85, 0                                       // 00000000381C: 7EAA0280
	v_mov_b32_e32 v150, 0                                      // 000000003820: 7F2C0280
	v_mov_b32_e32 v86, 0                                       // 000000003824: 7EAC0280
	v_mov_b32_e32 v151, 0                                      // 000000003828: 7F2E0280
	v_mov_b32_e32 v87, 0                                       // 00000000382C: 7EAE0280
	v_mov_b32_e32 v152, 0                                      // 000000003830: 7F300280
	v_mov_b32_e32 v88, 0                                       // 000000003834: 7EB00280
	v_mov_b32_e32 v153, 0                                      // 000000003838: 7F320280
	v_mov_b32_e32 v89, 0                                       // 00000000383C: 7EB20280
	v_mov_b32_e32 v154, 0                                      // 000000003840: 7F340280
	v_mov_b32_e32 v90, 0                                       // 000000003844: 7EB40280
	v_mov_b32_e32 v155, 0                                      // 000000003848: 7F360280
	v_mov_b32_e32 v91, 0                                       // 00000000384C: 7EB60280
	v_mov_b32_e32 v156, 0                                      // 000000003850: 7F380280
	v_mov_b32_e32 v92, 0                                       // 000000003854: 7EB80280
	v_mov_b32_e32 v157, 0                                      // 000000003858: 7F3A0280
	v_mov_b32_e32 v93, 0                                       // 00000000385C: 7EBA0280
	v_mov_b32_e32 v158, 0                                      // 000000003860: 7F3C0280
	v_mov_b32_e32 v94, 0                                       // 000000003864: 7EBC0280
	v_mov_b32_e32 v159, 0                                      // 000000003868: 7F3E0280
	v_mov_b32_e32 v95, 0                                       // 00000000386C: 7EBE0280
	v_lshrrev_b32_e32 v46, 4, v0                               // 000000003870: 205C0084
	v_mul_i32_i24_e32 v3, 34, v46                              // 000000003874: 0C065CA2
	v_and_b32_e32 v46, 15, v0                                  // 000000003878: 265C008F
	v_mul_i32_i24_e32 v47, 2, v46                              // 00000000387C: 0C5E5C82
	v_add_u32_e32 v3, v47, v3                                  // 000000003880: 6806072F
	s_mul_i32 s60, s7, 0x88                                    // 000000003884: 923CFF07 00000088
	v_add_u32_e32 v3, s60, v3                                  // 00000000388C: 6806063C
	v_lshlrev_b32_e32 v3, 2, v3                                // 000000003890: 24060682
	v_lshrrev_b32_e32 v46, 1, v0                               // 000000003894: 205C0081
	v_mul_i32_i24_e32 v4, 34, v46                              // 000000003898: 0C085CA2
	v_and_b32_e32 v47, 1, v0                                   // 00000000389C: 265E0081
	v_add_u32_e32 v4, v47, v4                                  // 0000000038A0: 6808092F
	s_mul_i32 s60, s7, 2                                       // 0000000038A4: 923C8207
	v_add_u32_e32 v4, s60, v4                                  // 0000000038A8: 6808083C
	v_lshlrev_b32_e32 v4, 2, v4                                // 0000000038AC: 24080882
	s_waitcnt vmcnt(16)                                        // 0000000038B0: BF8C4F70
	s_barrier                                                  // 0000000038B4: BF8A0000
	ds_read_b128 v[160:163], v2                                // 0000000038B8: D9FE0000 A0000002
	ds_read_b128 v[164:167], v2 offset:64                      // 0000000038C0: D9FE0040 A4000002
	ds_read_b128 v[168:171], v2 offset:128                     // 0000000038C8: D9FE0080 A8000002
	ds_read_b128 v[172:175], v2 offset:192                     // 0000000038D0: D9FE00C0 AC000002
	ds_read_b128 v[176:179], v2 offset:1024                    // 0000000038D8: D9FE0400 B0000002
	ds_read_b128 v[180:183], v2 offset:1088                    // 0000000038E0: D9FE0440 B4000002
	ds_read_b128 v[184:187], v2 offset:1152                    // 0000000038E8: D9FE0480 B8000002
	ds_read_b128 v[188:191], v2 offset:1216                    // 0000000038F0: D9FE04C0 BC000002
	s_cmp_lt_i32 s7, 2                                         // 0000000038F8: BF048207
	s_cbranch_scc0 label_0F85                                  // 0000000038FC: BF840CC5

0000000000003900 <label_02C0>:
	s_waitcnt vmcnt(8) lgkmcnt(0)                              // 000000003900: BF8C0078
	s_barrier                                                  // 000000003904: BF8A0000
	v_mfma_i32_16x16x32_i8 v[128:131], a[0:1], v[160:161], v[128:131]// 000000003908: D3D70080 0E034100
	v_mfma_i32_16x16x32_i8 v[128:131], a[2:3], v[162:163], v[128:131]// 000000003910: D3D70080 0E034502
	buffer_load_dwordx4 a[64:67], v32, s[92:95], 0 offen       // 000000003918: E05C1000 80974020
	v_mfma_i32_16x16x32_i8 v[128:131], a[4:5], v[164:165], v[128:131]// 000000003920: D3D70080 0E034904
	v_mfma_i32_16x16x32_i8 v[128:131], a[6:7], v[166:167], v[128:131]// 000000003928: D3D70080 0E034D06
	buffer_load_dword v24, s[20:23], 0 offen lds               // 000000003930: E0511000 80050018
	s_add_u32 m0, 0x100, s51                                   // 000000003938: 807C33FF 00000100
	v_mfma_i32_16x16x32_i8 v[128:131], a[8:9], v[168:169], v[128:131]// 000000003940: D3D70080 0E035108
	v_mfma_i32_16x16x32_i8 v[128:131], a[10:11], v[170:171], v[128:131]// 000000003948: D3D70080 0E03550A
	buffer_load_dwordx4 a[68:71], v32, s[92:95], 0 offen offset:1024// 000000003950: E05C1400 80974420
	v_mfma_i32_16x16x32_i8 v[128:131], a[12:13], v[172:173], v[128:131]// 000000003958: D3D70080 0E03590C
	v_mfma_i32_16x16x32_i8 v[128:131], a[14:15], v[174:175], v[128:131]// 000000003960: D3D70080 0E035D0E
	buffer_load_dword v25, s[20:23], 0 offen lds               // 000000003968: E0511000 80050019
	s_add_u32 m0, 0x200, s51                                   // 000000003970: 807C33FF 00000200
	v_mfma_i32_16x16x32_i8 v[132:135], a[0:1], v[176:177], v[132:135]// 000000003978: D3D70084 0E136100
	v_mfma_i32_16x16x32_i8 v[132:135], a[2:3], v[178:179], v[132:135]// 000000003980: D3D70084 0E136502
	buffer_load_dwordx4 a[72:75], v32, s[92:95], 0 offen offset:2048// 000000003988: E05C1800 80974820
	v_mfma_i32_16x16x32_i8 v[132:135], a[4:5], v[180:181], v[132:135]// 000000003990: D3D70084 0E136904
	v_mfma_i32_16x16x32_i8 v[132:135], a[6:7], v[182:183], v[132:135]// 000000003998: D3D70084 0E136D06
	buffer_load_dword v26, s[20:23], 0 offen lds               // 0000000039A0: E0511000 8005001A
	s_add_u32 m0, 0x300, s51                                   // 0000000039A8: 807C33FF 00000300
	v_mfma_i32_16x16x32_i8 v[132:135], a[8:9], v[184:185], v[132:135]// 0000000039B0: D3D70084 0E137108
	v_mfma_i32_16x16x32_i8 v[132:135], a[10:11], v[186:187], v[132:135]// 0000000039B8: D3D70084 0E13750A
	buffer_load_dwordx4 a[76:79], v32, s[92:95], 0 offen offset:3072// 0000000039C0: E05C1C00 80974C20
	v_mfma_i32_16x16x32_i8 v[132:135], a[12:13], v[188:189], v[132:135]// 0000000039C8: D3D70084 0E13790C
	v_mfma_i32_16x16x32_i8 v[132:135], a[14:15], v[190:191], v[132:135]// 0000000039D0: D3D70084 0E137D0E
	buffer_load_dword v27, s[20:23], 0 offen lds               // 0000000039D8: E0511000 8005001B
	s_add_u32 m0, 0x400, s51                                   // 0000000039E0: 807C33FF 00000400
	v_mfma_i32_16x16x32_i8 v[136:139], a[16:17], v[160:161], v[136:139]// 0000000039E8: D3D70088 0E234110
	v_mfma_i32_16x16x32_i8 v[136:139], a[18:19], v[162:163], v[136:139]// 0000000039F0: D3D70088 0E234512
	buffer_load_dwordx4 a[80:83], v33, s[92:95], 0 offen       // 0000000039F8: E05C1000 80975021
	v_mfma_i32_16x16x32_i8 v[136:139], a[20:21], v[164:165], v[136:139]// 000000003A00: D3D70088 0E234914
	v_mfma_i32_16x16x32_i8 v[136:139], a[22:23], v[166:167], v[136:139]// 000000003A08: D3D70088 0E234D16
	buffer_load_dword v28, s[20:23], 0 offen lds               // 000000003A10: E0511000 8005001C
	s_add_u32 m0, 0x500, s51                                   // 000000003A18: 807C33FF 00000500
	v_mfma_i32_16x16x32_i8 v[136:139], a[24:25], v[168:169], v[136:139]// 000000003A20: D3D70088 0E235118
	v_mfma_i32_16x16x32_i8 v[136:139], a[26:27], v[170:171], v[136:139]// 000000003A28: D3D70088 0E23551A
	buffer_load_dwordx4 a[84:87], v33, s[92:95], 0 offen offset:1024// 000000003A30: E05C1400 80975421
	v_mfma_i32_16x16x32_i8 v[136:139], a[28:29], v[172:173], v[136:139]// 000000003A38: D3D70088 0E23591C
	v_mfma_i32_16x16x32_i8 v[136:139], a[30:31], v[174:175], v[136:139]// 000000003A40: D3D70088 0E235D1E
	buffer_load_dword v29, s[20:23], 0 offen lds               // 000000003A48: E0511000 8005001D
	s_add_u32 m0, 0x600, s51                                   // 000000003A50: 807C33FF 00000600
	v_mfma_i32_16x16x32_i8 v[140:143], a[16:17], v[176:177], v[140:143]// 000000003A58: D3D7008C 0E336110
	v_mfma_i32_16x16x32_i8 v[140:143], a[18:19], v[178:179], v[140:143]// 000000003A60: D3D7008C 0E336512
	buffer_load_dwordx4 a[88:91], v33, s[92:95], 0 offen offset:2048// 000000003A68: E05C1800 80975821
	v_mfma_i32_16x16x32_i8 v[140:143], a[20:21], v[180:181], v[140:143]// 000000003A70: D3D7008C 0E336914
	v_mfma_i32_16x16x32_i8 v[140:143], a[22:23], v[182:183], v[140:143]// 000000003A78: D3D7008C 0E336D16
	buffer_load_dword v30, s[20:23], 0 offen lds               // 000000003A80: E0511000 8005001E
	s_add_u32 m0, 0x700, s51                                   // 000000003A88: 807C33FF 00000700
	v_mfma_i32_16x16x32_i8 v[140:143], a[24:25], v[184:185], v[140:143]// 000000003A90: D3D7008C 0E337118
	v_mfma_i32_16x16x32_i8 v[140:143], a[26:27], v[186:187], v[140:143]// 000000003A98: D3D7008C 0E33751A
	buffer_load_dwordx4 a[92:95], v33, s[92:95], 0 offen offset:3072// 000000003AA0: E05C1C00 80975C21
	v_mfma_i32_16x16x32_i8 v[140:143], a[28:29], v[188:189], v[140:143]// 000000003AA8: D3D7008C 0E33791C
	v_mfma_i32_16x16x32_i8 v[140:143], a[30:31], v[190:191], v[140:143]// 000000003AB0: D3D7008C 0E337D1E
	buffer_load_dword v31, s[20:23], 0 offen lds               // 000000003AB8: E0511000 8005001F
	s_add_u32 m0, 0, s50                                       // 000000003AC0: 807C3280
	s_waitcnt vmcnt(20)                                        // 000000003AC4: BF8C4F74
	v_mfma_i32_16x16x32_i8 v[144:147], a[32:33], v[160:161], v[144:147]// 000000003AC8: D3D70090 0E434120
	v_mfma_i32_16x16x32_i8 v[144:147], a[34:35], v[162:163], v[144:147]// 000000003AD0: D3D70090 0E434522
	buffer_load_dwordx4 a[96:99], v34, s[92:95], 0 offen       // 000000003AD8: E05C1000 80976022
	v_mfma_i32_16x16x32_i8 v[144:147], a[36:37], v[164:165], v[144:147]// 000000003AE0: D3D70090 0E434924
	v_mfma_i32_16x16x32_i8 v[144:147], a[38:39], v[166:167], v[144:147]// 000000003AE8: D3D70090 0E434D26
	v_mfma_i32_16x16x32_i8 v[144:147], a[40:41], v[168:169], v[144:147]// 000000003AF0: D3D70090 0E435128
	v_mfma_i32_16x16x32_i8 v[144:147], a[42:43], v[170:171], v[144:147]// 000000003AF8: D3D70090 0E43552A
	buffer_load_dwordx4 a[100:103], v34, s[92:95], 0 offen offset:1024// 000000003B00: E05C1400 80976422
	v_mfma_i32_16x16x32_i8 v[144:147], a[44:45], v[172:173], v[144:147]// 000000003B08: D3D70090 0E43592C
	v_mfma_i32_16x16x32_i8 v[144:147], a[46:47], v[174:175], v[144:147]// 000000003B10: D3D70090 0E435D2E
	v_mfma_i32_16x16x32_i8 v[148:151], a[32:33], v[176:177], v[148:151]// 000000003B18: D3D70094 0E536120
	v_mfma_i32_16x16x32_i8 v[148:151], a[34:35], v[178:179], v[148:151]// 000000003B20: D3D70094 0E536522
	buffer_load_dwordx4 a[104:107], v34, s[92:95], 0 offen offset:2048// 000000003B28: E05C1800 80976822
	v_mfma_i32_16x16x32_i8 v[148:151], a[36:37], v[180:181], v[148:151]// 000000003B30: D3D70094 0E536924
	v_mfma_i32_16x16x32_i8 v[148:151], a[38:39], v[182:183], v[148:151]// 000000003B38: D3D70094 0E536D26
	v_mfma_i32_16x16x32_i8 v[148:151], a[40:41], v[184:185], v[148:151]// 000000003B40: D3D70094 0E537128
	v_mfma_i32_16x16x32_i8 v[148:151], a[42:43], v[186:187], v[148:151]// 000000003B48: D3D70094 0E53752A
	buffer_load_dwordx4 a[108:111], v34, s[92:95], 0 offen offset:3072// 000000003B50: E05C1C00 80976C22
	v_mfma_i32_16x16x32_i8 v[148:151], a[44:45], v[188:189], v[148:151]// 000000003B58: D3D70094 0E53792C
	v_mfma_i32_16x16x32_i8 v[148:151], a[46:47], v[190:191], v[148:151]// 000000003B60: D3D70094 0E537D2E
	s_waitcnt vmcnt(20)                                        // 000000003B68: BF8C4F74
	v_mfma_i32_16x16x32_i8 v[152:155], a[48:49], v[160:161], v[152:155]// 000000003B6C: D3D70098 0E634130
	v_mfma_i32_16x16x32_i8 v[152:155], a[50:51], v[162:163], v[152:155]// 000000003B74: D3D70098 0E634532
	buffer_load_dwordx4 a[112:115], v35, s[92:95], 0 offen     // 000000003B7C: E05C1000 80977023
	v_mfma_i32_16x16x32_i8 v[152:155], a[52:53], v[164:165], v[152:155]// 000000003B84: D3D70098 0E634934
	v_mfma_i32_16x16x32_i8 v[152:155], a[54:55], v[166:167], v[152:155]// 000000003B8C: D3D70098 0E634D36
	v_mfma_i32_16x16x32_i8 v[152:155], a[56:57], v[168:169], v[152:155]// 000000003B94: D3D70098 0E635138
	v_mfma_i32_16x16x32_i8 v[152:155], a[58:59], v[170:171], v[152:155]// 000000003B9C: D3D70098 0E63553A
	buffer_load_dwordx4 a[116:119], v35, s[92:95], 0 offen offset:1024// 000000003BA4: E05C1400 80977423
	v_mfma_i32_16x16x32_i8 v[152:155], a[60:61], v[172:173], v[152:155]// 000000003BAC: D3D70098 0E63593C
	v_mfma_i32_16x16x32_i8 v[152:155], a[62:63], v[174:175], v[152:155]// 000000003BB4: D3D70098 0E635D3E
	v_mfma_i32_16x16x32_i8 v[156:159], a[48:49], v[176:177], v[156:159]// 000000003BBC: D3D7009C 0E736130
	v_mfma_i32_16x16x32_i8 v[156:159], a[50:51], v[178:179], v[156:159]// 000000003BC4: D3D7009C 0E736532
	buffer_load_dwordx4 a[120:123], v35, s[92:95], 0 offen offset:2048// 000000003BCC: E05C1800 80977823
	v_mfma_i32_16x16x32_i8 v[156:159], a[52:53], v[180:181], v[156:159]// 000000003BD4: D3D7009C 0E736934
	v_mfma_i32_16x16x32_i8 v[156:159], a[54:55], v[182:183], v[156:159]// 000000003BDC: D3D7009C 0E736D36
	v_mfma_i32_16x16x32_i8 v[156:159], a[56:57], v[184:185], v[156:159]// 000000003BE4: D3D7009C 0E737138
	v_mfma_i32_16x16x32_i8 v[156:159], a[58:59], v[186:187], v[156:159]// 000000003BEC: D3D7009C 0E73753A
	buffer_load_dwordx4 a[124:127], v35, s[92:95], 0 offen offset:3072// 000000003BF4: E05C1C00 80977C23
	v_mfma_i32_16x16x32_i8 v[156:159], a[60:61], v[188:189], v[156:159]// 000000003BFC: D3D7009C 0E73793C
	v_mfma_i32_16x16x32_i8 v[156:159], a[62:63], v[190:191], v[156:159]// 000000003C04: D3D7009C 0E737D3E
	s_waitcnt vmcnt(8)                                         // 000000003C0C: BF8C0F78
	s_barrier                                                  // 000000003C10: BF8A0000
	v_mfma_i32_16x16x32_i8 v[64:67], a[64:65], v[160:161], v[64:67]// 000000003C14: D3D70040 0D034140
	v_mfma_i32_16x16x32_i8 v[64:67], a[66:67], v[162:163], v[64:67]// 000000003C1C: D3D70040 0D034542
	buffer_load_dwordx4 a[0:3], v32, s[24:27], 0 offen         // 000000003C24: E05C1000 80860020
	v_mfma_i32_16x16x32_i8 v[64:67], a[68:69], v[164:165], v[64:67]// 000000003C2C: D3D70040 0D034944
	v_mfma_i32_16x16x32_i8 v[64:67], a[70:71], v[166:167], v[64:67]// 000000003C34: D3D70040 0D034D46
	v_mfma_i32_16x16x32_i8 v[64:67], a[72:73], v[168:169], v[64:67]// 000000003C3C: D3D70040 0D035148
	v_mfma_i32_16x16x32_i8 v[64:67], a[74:75], v[170:171], v[64:67]// 000000003C44: D3D70040 0D03554A
	buffer_load_dwordx4 a[4:7], v32, s[24:27], 0 offen offset:1024// 000000003C4C: E05C1400 80860420
	v_mfma_i32_16x16x32_i8 v[64:67], a[76:77], v[172:173], v[64:67]// 000000003C54: D3D70040 0D03594C
	v_mfma_i32_16x16x32_i8 v[64:67], a[78:79], v[174:175], v[64:67]// 000000003C5C: D3D70040 0D035D4E
	v_mfma_i32_16x16x32_i8 v[68:71], a[64:65], v[176:177], v[68:71]// 000000003C64: D3D70044 0D136140
	v_mfma_i32_16x16x32_i8 v[68:71], a[66:67], v[178:179], v[68:71]// 000000003C6C: D3D70044 0D136542
	buffer_load_dwordx4 a[8:11], v32, s[24:27], 0 offen offset:2048// 000000003C74: E05C1800 80860820
	v_mfma_i32_16x16x32_i8 v[68:71], a[68:69], v[180:181], v[68:71]// 000000003C7C: D3D70044 0D136944
	v_mfma_i32_16x16x32_i8 v[68:71], a[70:71], v[182:183], v[68:71]// 000000003C84: D3D70044 0D136D46
	v_mfma_i32_16x16x32_i8 v[68:71], a[72:73], v[184:185], v[68:71]// 000000003C8C: D3D70044 0D137148
	v_mfma_i32_16x16x32_i8 v[68:71], a[74:75], v[186:187], v[68:71]// 000000003C94: D3D70044 0D13754A
	buffer_load_dwordx4 a[12:15], v32, s[24:27], 0 offen offset:3072// 000000003C9C: E05C1C00 80860C20
	v_mfma_i32_16x16x32_i8 v[68:71], a[76:77], v[188:189], v[68:71]// 000000003CA4: D3D70044 0D13794C
	v_mfma_i32_16x16x32_i8 v[68:71], a[78:79], v[190:191], v[68:71]// 000000003CAC: D3D70044 0D137D4E
	v_mfma_i32_16x16x32_i8 v[72:75], a[80:81], v[160:161], v[72:75]// 000000003CB4: D3D70048 0D234150
	v_mfma_i32_16x16x32_i8 v[72:75], a[82:83], v[162:163], v[72:75]// 000000003CBC: D3D70048 0D234552
	buffer_load_dwordx4 a[16:19], v33, s[24:27], 0 offen       // 000000003CC4: E05C1000 80861021
	v_mfma_i32_16x16x32_i8 v[72:75], a[84:85], v[164:165], v[72:75]// 000000003CCC: D3D70048 0D234954
	v_mfma_i32_16x16x32_i8 v[72:75], a[86:87], v[166:167], v[72:75]// 000000003CD4: D3D70048 0D234D56
	v_mfma_i32_16x16x32_i8 v[72:75], a[88:89], v[168:169], v[72:75]// 000000003CDC: D3D70048 0D235158
	v_mfma_i32_16x16x32_i8 v[72:75], a[90:91], v[170:171], v[72:75]// 000000003CE4: D3D70048 0D23555A
	buffer_load_dwordx4 a[20:23], v33, s[24:27], 0 offen offset:1024// 000000003CEC: E05C1400 80861421
	v_mfma_i32_16x16x32_i8 v[72:75], a[92:93], v[172:173], v[72:75]// 000000003CF4: D3D70048 0D23595C
	v_mfma_i32_16x16x32_i8 v[72:75], a[94:95], v[174:175], v[72:75]// 000000003CFC: D3D70048 0D235D5E
	v_mfma_i32_16x16x32_i8 v[76:79], a[80:81], v[176:177], v[76:79]// 000000003D04: D3D7004C 0D336150
	v_mfma_i32_16x16x32_i8 v[76:79], a[82:83], v[178:179], v[76:79]// 000000003D0C: D3D7004C 0D336552
	buffer_load_dwordx4 a[24:27], v33, s[24:27], 0 offen offset:2048// 000000003D14: E05C1800 80861821
	v_mfma_i32_16x16x32_i8 v[76:79], a[84:85], v[180:181], v[76:79]// 000000003D1C: D3D7004C 0D336954
	v_mfma_i32_16x16x32_i8 v[76:79], a[86:87], v[182:183], v[76:79]// 000000003D24: D3D7004C 0D336D56
	v_mfma_i32_16x16x32_i8 v[76:79], a[88:89], v[184:185], v[76:79]// 000000003D2C: D3D7004C 0D337158
	v_mfma_i32_16x16x32_i8 v[76:79], a[90:91], v[186:187], v[76:79]// 000000003D34: D3D7004C 0D33755A
	buffer_load_dwordx4 a[28:31], v33, s[24:27], 0 offen offset:3072// 000000003D3C: E05C1C00 80861C21
	v_mfma_i32_16x16x32_i8 v[76:79], a[92:93], v[188:189], v[76:79]// 000000003D44: D3D7004C 0D33795C
	v_mfma_i32_16x16x32_i8 v[76:79], a[94:95], v[190:191], v[76:79]// 000000003D4C: D3D7004C 0D337D5E
	s_waitcnt vmcnt(12)                                        // 000000003D54: BF8C0F7C
	v_mfma_i32_16x16x32_i8 v[80:83], a[96:97], v[160:161], v[80:83]// 000000003D58: D3D70050 0D434160
	v_mfma_i32_16x16x32_i8 v[80:83], a[98:99], v[162:163], v[80:83]// 000000003D60: D3D70050 0D434562
	buffer_load_dwordx4 a[32:35], v34, s[24:27], 0 offen       // 000000003D68: E05C1000 80862022
	v_mfma_i32_16x16x32_i8 v[80:83], a[100:101], v[164:165], v[80:83]// 000000003D70: D3D70050 0D434964
	v_mfma_i32_16x16x32_i8 v[80:83], a[102:103], v[166:167], v[80:83]// 000000003D78: D3D70050 0D434D66
	ds_read_b128 v[192:195], v2 offset:8320                    // 000000003D80: D9FE2080 C0000002
	v_mfma_i32_16x16x32_i8 v[80:83], a[104:105], v[168:169], v[80:83]// 000000003D88: D3D70050 0D435168
	v_mfma_i32_16x16x32_i8 v[80:83], a[106:107], v[170:171], v[80:83]// 000000003D90: D3D70050 0D43556A
	buffer_load_dwordx4 a[36:39], v34, s[24:27], 0 offen offset:1024// 000000003D98: E05C1400 80862422
	v_mfma_i32_16x16x32_i8 v[80:83], a[108:109], v[172:173], v[80:83]// 000000003DA0: D3D70050 0D43596C
	v_mfma_i32_16x16x32_i8 v[80:83], a[110:111], v[174:175], v[80:83]// 000000003DA8: D3D70050 0D435D6E
	ds_read_b128 v[196:199], v2 offset:8384                    // 000000003DB0: D9FE20C0 C4000002
	v_mfma_i32_16x16x32_i8 v[84:87], a[96:97], v[176:177], v[84:87]// 000000003DB8: D3D70054 0D536160
	v_mfma_i32_16x16x32_i8 v[84:87], a[98:99], v[178:179], v[84:87]// 000000003DC0: D3D70054 0D536562
	buffer_load_dwordx4 a[40:43], v34, s[24:27], 0 offen offset:2048// 000000003DC8: E05C1800 80862822
	v_mfma_i32_16x16x32_i8 v[84:87], a[100:101], v[180:181], v[84:87]// 000000003DD0: D3D70054 0D536964
	v_mfma_i32_16x16x32_i8 v[84:87], a[102:103], v[182:183], v[84:87]// 000000003DD8: D3D70054 0D536D66
	ds_read_b128 v[200:203], v2 offset:8448                    // 000000003DE0: D9FE2100 C8000002
	v_mfma_i32_16x16x32_i8 v[84:87], a[104:105], v[184:185], v[84:87]// 000000003DE8: D3D70054 0D537168
	v_mfma_i32_16x16x32_i8 v[84:87], a[106:107], v[186:187], v[84:87]// 000000003DF0: D3D70054 0D53756A
	buffer_load_dwordx4 a[44:47], v34, s[24:27], 0 offen offset:3072// 000000003DF8: E05C1C00 80862C22
	v_mfma_i32_16x16x32_i8 v[84:87], a[108:109], v[188:189], v[84:87]// 000000003E00: D3D70054 0D53796C
	v_mfma_i32_16x16x32_i8 v[84:87], a[110:111], v[190:191], v[84:87]// 000000003E08: D3D70054 0D537D6E
	ds_read_b128 v[204:207], v2 offset:8512                    // 000000003E10: D9FE2140 CC000002
	s_waitcnt vmcnt(12)                                        // 000000003E18: BF8C0F7C
	v_mfma_i32_16x16x32_i8 v[88:91], a[112:113], v[160:161], v[88:91]// 000000003E1C: D3D70058 0D634170
	v_mfma_i32_16x16x32_i8 v[88:91], a[114:115], v[162:163], v[88:91]// 000000003E24: D3D70058 0D634572
	buffer_load_dwordx4 a[48:51], v35, s[24:27], 0 offen       // 000000003E2C: E05C1000 80863023
	v_mfma_i32_16x16x32_i8 v[88:91], a[116:117], v[164:165], v[88:91]// 000000003E34: D3D70058 0D634974
	v_mfma_i32_16x16x32_i8 v[88:91], a[118:119], v[166:167], v[88:91]// 000000003E3C: D3D70058 0D634D76
	ds_read_b128 v[208:211], v2 offset:9344                    // 000000003E44: D9FE2480 D0000002
	v_mfma_i32_16x16x32_i8 v[88:91], a[120:121], v[168:169], v[88:91]// 000000003E4C: D3D70058 0D635178
	v_mfma_i32_16x16x32_i8 v[88:91], a[122:123], v[170:171], v[88:91]// 000000003E54: D3D70058 0D63557A
	buffer_load_dwordx4 a[52:55], v35, s[24:27], 0 offen offset:1024// 000000003E5C: E05C1400 80863423
	v_mfma_i32_16x16x32_i8 v[88:91], a[124:125], v[172:173], v[88:91]// 000000003E64: D3D70058 0D63597C
	v_mfma_i32_16x16x32_i8 v[88:91], a[126:127], v[174:175], v[88:91]// 000000003E6C: D3D70058 0D635D7E
	ds_read_b128 v[212:215], v2 offset:9408                    // 000000003E74: D9FE24C0 D4000002
	v_mfma_i32_16x16x32_i8 v[92:95], a[112:113], v[176:177], v[92:95]// 000000003E7C: D3D7005C 0D736170
	v_mfma_i32_16x16x32_i8 v[92:95], a[114:115], v[178:179], v[92:95]// 000000003E84: D3D7005C 0D736572
	buffer_load_dwordx4 a[56:59], v35, s[24:27], 0 offen offset:2048// 000000003E8C: E05C1800 80863823
	v_mfma_i32_16x16x32_i8 v[92:95], a[116:117], v[180:181], v[92:95]// 000000003E94: D3D7005C 0D736974
	v_mfma_i32_16x16x32_i8 v[92:95], a[118:119], v[182:183], v[92:95]// 000000003E9C: D3D7005C 0D736D76
	ds_read_b128 v[216:219], v2 offset:9472                    // 000000003EA4: D9FE2500 D8000002
	v_mfma_i32_16x16x32_i8 v[92:95], a[120:121], v[184:185], v[92:95]// 000000003EAC: D3D7005C 0D737178
	v_mfma_i32_16x16x32_i8 v[92:95], a[122:123], v[186:187], v[92:95]// 000000003EB4: D3D7005C 0D73757A
	buffer_load_dwordx4 a[60:63], v35, s[24:27], 0 offen offset:3072// 000000003EBC: E05C1C00 80863C23
	v_mfma_i32_16x16x32_i8 v[92:95], a[124:125], v[188:189], v[92:95]// 000000003EC4: D3D7005C 0D73797C
	v_mfma_i32_16x16x32_i8 v[92:95], a[126:127], v[190:191], v[92:95]// 000000003ECC: D3D7005C 0D737D7E
	ds_read_b128 v[220:223], v2 offset:9536                    // 000000003ED4: D9FE2540 DC000002
	s_add_u32 s60, 0x200, s80                                  // 000000003EDC: 803C50FF 00000200
	s_cmp_lt_u32 s60, s81                                      // 000000003EE4: BF0A513C
	s_cselect_b32 s57, s57, 0                                  // 000000003EE8: 85398039
	s_add_u32 s60, 0x200, s80                                  // 000000003EEC: 803C50FF 00000200
	s_cmp_lt_u32 s60, s81                                      // 000000003EF4: BF0A513C
	s_cselect_b32 s58, s58, 0                                  // 000000003EF8: 853A803A
	s_add_u32 s20, s57, s20                                    // 000000003EFC: 80141439
	s_addc_u32 s21, 0, s21                                     // 000000003F00: 82151580
	s_add_u32 s24, s58, s24                                    // 000000003F04: 8018183A
	s_addc_u32 s25, 0, s25                                     // 000000003F08: 82191980
	s_add_u32 s92, s90, s92                                    // 000000003F0C: 805C5C5A
	s_addc_u32 s93, 0, s93                                     // 000000003F10: 825D5D80
	s_addk_i32 s80, 0x100                                      // 000000003F14: B7500100
	s_cmp_lt_i32 s80, s81                                      // 000000003F18: BF045150
	s_cbranch_scc0 label_05D1                                  // 000000003F1C: BF840189
	s_waitcnt vmcnt(8) lgkmcnt(0)                              // 000000003F20: BF8C0078
	s_barrier                                                  // 000000003F24: BF8A0000
	v_mfma_i32_16x16x32_i8 v[128:131], a[0:1], v[192:193], v[128:131]// 000000003F28: D3D70080 0E038100
	v_mfma_i32_16x16x32_i8 v[128:131], a[2:3], v[194:195], v[128:131]// 000000003F30: D3D70080 0E038502
	buffer_load_dwordx4 a[64:67], v32, s[92:95], 0 offen       // 000000003F38: E05C1000 80974020
	v_mfma_i32_16x16x32_i8 v[128:131], a[4:5], v[196:197], v[128:131]// 000000003F40: D3D70080 0E038904
	v_mfma_i32_16x16x32_i8 v[128:131], a[6:7], v[198:199], v[128:131]// 000000003F48: D3D70080 0E038D06
	buffer_load_dword v24, s[20:23], 0 offen lds               // 000000003F50: E0511000 80050018
	s_add_u32 m0, 0x100, s50                                   // 000000003F58: 807C32FF 00000100
	v_mfma_i32_16x16x32_i8 v[128:131], a[8:9], v[200:201], v[128:131]// 000000003F60: D3D70080 0E039108
	v_mfma_i32_16x16x32_i8 v[128:131], a[10:11], v[202:203], v[128:131]// 000000003F68: D3D70080 0E03950A
	buffer_load_dwordx4 a[68:71], v32, s[92:95], 0 offen offset:1024// 000000003F70: E05C1400 80974420
	v_mfma_i32_16x16x32_i8 v[128:131], a[12:13], v[204:205], v[128:131]// 000000003F78: D3D70080 0E03990C
	v_mfma_i32_16x16x32_i8 v[128:131], a[14:15], v[206:207], v[128:131]// 000000003F80: D3D70080 0E039D0E
	buffer_load_dword v25, s[20:23], 0 offen lds               // 000000003F88: E0511000 80050019
	s_add_u32 m0, 0x200, s50                                   // 000000003F90: 807C32FF 00000200
	v_mfma_i32_16x16x32_i8 v[132:135], a[0:1], v[208:209], v[132:135]// 000000003F98: D3D70084 0E13A100
	v_mfma_i32_16x16x32_i8 v[132:135], a[2:3], v[210:211], v[132:135]// 000000003FA0: D3D70084 0E13A502
	buffer_load_dwordx4 a[72:75], v32, s[92:95], 0 offen offset:2048// 000000003FA8: E05C1800 80974820
	v_mfma_i32_16x16x32_i8 v[132:135], a[4:5], v[212:213], v[132:135]// 000000003FB0: D3D70084 0E13A904
	v_mfma_i32_16x16x32_i8 v[132:135], a[6:7], v[214:215], v[132:135]// 000000003FB8: D3D70084 0E13AD06
	buffer_load_dword v26, s[20:23], 0 offen lds               // 000000003FC0: E0511000 8005001A
	s_add_u32 m0, 0x300, s50                                   // 000000003FC8: 807C32FF 00000300
	v_mfma_i32_16x16x32_i8 v[132:135], a[8:9], v[216:217], v[132:135]// 000000003FD0: D3D70084 0E13B108
	v_mfma_i32_16x16x32_i8 v[132:135], a[10:11], v[218:219], v[132:135]// 000000003FD8: D3D70084 0E13B50A
	buffer_load_dwordx4 a[76:79], v32, s[92:95], 0 offen offset:3072// 000000003FE0: E05C1C00 80974C20
	v_mfma_i32_16x16x32_i8 v[132:135], a[12:13], v[220:221], v[132:135]// 000000003FE8: D3D70084 0E13B90C
	v_mfma_i32_16x16x32_i8 v[132:135], a[14:15], v[222:223], v[132:135]// 000000003FF0: D3D70084 0E13BD0E
	buffer_load_dword v27, s[20:23], 0 offen lds               // 000000003FF8: E0511000 8005001B
	s_add_u32 m0, 0x400, s50                                   // 000000004000: 807C32FF 00000400
	v_mfma_i32_16x16x32_i8 v[136:139], a[16:17], v[192:193], v[136:139]// 000000004008: D3D70088 0E238110
	v_mfma_i32_16x16x32_i8 v[136:139], a[18:19], v[194:195], v[136:139]// 000000004010: D3D70088 0E238512
	buffer_load_dwordx4 a[80:83], v33, s[92:95], 0 offen       // 000000004018: E05C1000 80975021
	v_mfma_i32_16x16x32_i8 v[136:139], a[20:21], v[196:197], v[136:139]// 000000004020: D3D70088 0E238914
	v_mfma_i32_16x16x32_i8 v[136:139], a[22:23], v[198:199], v[136:139]// 000000004028: D3D70088 0E238D16
	buffer_load_dword v28, s[20:23], 0 offen lds               // 000000004030: E0511000 8005001C
	s_add_u32 m0, 0x500, s50                                   // 000000004038: 807C32FF 00000500
	v_mfma_i32_16x16x32_i8 v[136:139], a[24:25], v[200:201], v[136:139]// 000000004040: D3D70088 0E239118
	v_mfma_i32_16x16x32_i8 v[136:139], a[26:27], v[202:203], v[136:139]// 000000004048: D3D70088 0E23951A
	buffer_load_dwordx4 a[84:87], v33, s[92:95], 0 offen offset:1024// 000000004050: E05C1400 80975421
	v_mfma_i32_16x16x32_i8 v[136:139], a[28:29], v[204:205], v[136:139]// 000000004058: D3D70088 0E23991C
	v_mfma_i32_16x16x32_i8 v[136:139], a[30:31], v[206:207], v[136:139]// 000000004060: D3D70088 0E239D1E
	buffer_load_dword v29, s[20:23], 0 offen lds               // 000000004068: E0511000 8005001D
	s_add_u32 m0, 0x600, s50                                   // 000000004070: 807C32FF 00000600
	v_mfma_i32_16x16x32_i8 v[140:143], a[16:17], v[208:209], v[140:143]// 000000004078: D3D7008C 0E33A110
	v_mfma_i32_16x16x32_i8 v[140:143], a[18:19], v[210:211], v[140:143]// 000000004080: D3D7008C 0E33A512
	buffer_load_dwordx4 a[88:91], v33, s[92:95], 0 offen offset:2048// 000000004088: E05C1800 80975821
	v_mfma_i32_16x16x32_i8 v[140:143], a[20:21], v[212:213], v[140:143]// 000000004090: D3D7008C 0E33A914
	v_mfma_i32_16x16x32_i8 v[140:143], a[22:23], v[214:215], v[140:143]// 000000004098: D3D7008C 0E33AD16
	buffer_load_dword v30, s[20:23], 0 offen lds               // 0000000040A0: E0511000 8005001E
	s_add_u32 m0, 0x700, s50                                   // 0000000040A8: 807C32FF 00000700
	v_mfma_i32_16x16x32_i8 v[140:143], a[24:25], v[216:217], v[140:143]// 0000000040B0: D3D7008C 0E33B118
	v_mfma_i32_16x16x32_i8 v[140:143], a[26:27], v[218:219], v[140:143]// 0000000040B8: D3D7008C 0E33B51A
	buffer_load_dwordx4 a[92:95], v33, s[92:95], 0 offen offset:3072// 0000000040C0: E05C1C00 80975C21
	v_mfma_i32_16x16x32_i8 v[140:143], a[28:29], v[220:221], v[140:143]// 0000000040C8: D3D7008C 0E33B91C
	v_mfma_i32_16x16x32_i8 v[140:143], a[30:31], v[222:223], v[140:143]// 0000000040D0: D3D7008C 0E33BD1E
	buffer_load_dword v31, s[20:23], 0 offen lds               // 0000000040D8: E0511000 8005001F
	s_add_u32 m0, 0, s51                                       // 0000000040E0: 807C3380
	s_waitcnt vmcnt(20)                                        // 0000000040E4: BF8C4F74
	v_mfma_i32_16x16x32_i8 v[144:147], a[32:33], v[192:193], v[144:147]// 0000000040E8: D3D70090 0E438120
	v_mfma_i32_16x16x32_i8 v[144:147], a[34:35], v[194:195], v[144:147]// 0000000040F0: D3D70090 0E438522
	buffer_load_dwordx4 a[96:99], v34, s[92:95], 0 offen       // 0000000040F8: E05C1000 80976022
	v_mfma_i32_16x16x32_i8 v[144:147], a[36:37], v[196:197], v[144:147]// 000000004100: D3D70090 0E438924
	v_mfma_i32_16x16x32_i8 v[144:147], a[38:39], v[198:199], v[144:147]// 000000004108: D3D70090 0E438D26
	v_mfma_i32_16x16x32_i8 v[144:147], a[40:41], v[200:201], v[144:147]// 000000004110: D3D70090 0E439128
	v_mfma_i32_16x16x32_i8 v[144:147], a[42:43], v[202:203], v[144:147]// 000000004118: D3D70090 0E43952A
	buffer_load_dwordx4 a[100:103], v34, s[92:95], 0 offen offset:1024// 000000004120: E05C1400 80976422
	v_mfma_i32_16x16x32_i8 v[144:147], a[44:45], v[204:205], v[144:147]// 000000004128: D3D70090 0E43992C
	v_mfma_i32_16x16x32_i8 v[144:147], a[46:47], v[206:207], v[144:147]// 000000004130: D3D70090 0E439D2E
	v_mfma_i32_16x16x32_i8 v[148:151], a[32:33], v[208:209], v[148:151]// 000000004138: D3D70094 0E53A120
	v_mfma_i32_16x16x32_i8 v[148:151], a[34:35], v[210:211], v[148:151]// 000000004140: D3D70094 0E53A522
	buffer_load_dwordx4 a[104:107], v34, s[92:95], 0 offen offset:2048// 000000004148: E05C1800 80976822
	v_mfma_i32_16x16x32_i8 v[148:151], a[36:37], v[212:213], v[148:151]// 000000004150: D3D70094 0E53A924
	v_mfma_i32_16x16x32_i8 v[148:151], a[38:39], v[214:215], v[148:151]// 000000004158: D3D70094 0E53AD26
	v_mfma_i32_16x16x32_i8 v[148:151], a[40:41], v[216:217], v[148:151]// 000000004160: D3D70094 0E53B128
	v_mfma_i32_16x16x32_i8 v[148:151], a[42:43], v[218:219], v[148:151]// 000000004168: D3D70094 0E53B52A
	buffer_load_dwordx4 a[108:111], v34, s[92:95], 0 offen offset:3072// 000000004170: E05C1C00 80976C22
	v_mfma_i32_16x16x32_i8 v[148:151], a[44:45], v[220:221], v[148:151]// 000000004178: D3D70094 0E53B92C
	v_mfma_i32_16x16x32_i8 v[148:151], a[46:47], v[222:223], v[148:151]// 000000004180: D3D70094 0E53BD2E
	s_waitcnt vmcnt(20)                                        // 000000004188: BF8C4F74
	v_mfma_i32_16x16x32_i8 v[152:155], a[48:49], v[192:193], v[152:155]// 00000000418C: D3D70098 0E638130
	v_mfma_i32_16x16x32_i8 v[152:155], a[50:51], v[194:195], v[152:155]// 000000004194: D3D70098 0E638532
	buffer_load_dwordx4 a[112:115], v35, s[92:95], 0 offen     // 00000000419C: E05C1000 80977023
	v_mfma_i32_16x16x32_i8 v[152:155], a[52:53], v[196:197], v[152:155]// 0000000041A4: D3D70098 0E638934
	v_mfma_i32_16x16x32_i8 v[152:155], a[54:55], v[198:199], v[152:155]// 0000000041AC: D3D70098 0E638D36
	v_mfma_i32_16x16x32_i8 v[152:155], a[56:57], v[200:201], v[152:155]// 0000000041B4: D3D70098 0E639138
	v_mfma_i32_16x16x32_i8 v[152:155], a[58:59], v[202:203], v[152:155]// 0000000041BC: D3D70098 0E63953A
	buffer_load_dwordx4 a[116:119], v35, s[92:95], 0 offen offset:1024// 0000000041C4: E05C1400 80977423
	v_mfma_i32_16x16x32_i8 v[152:155], a[60:61], v[204:205], v[152:155]// 0000000041CC: D3D70098 0E63993C
	v_mfma_i32_16x16x32_i8 v[152:155], a[62:63], v[206:207], v[152:155]// 0000000041D4: D3D70098 0E639D3E
	v_mfma_i32_16x16x32_i8 v[156:159], a[48:49], v[208:209], v[156:159]// 0000000041DC: D3D7009C 0E73A130
	v_mfma_i32_16x16x32_i8 v[156:159], a[50:51], v[210:211], v[156:159]// 0000000041E4: D3D7009C 0E73A532
	buffer_load_dwordx4 a[120:123], v35, s[92:95], 0 offen offset:2048// 0000000041EC: E05C1800 80977823
	v_mfma_i32_16x16x32_i8 v[156:159], a[52:53], v[212:213], v[156:159]// 0000000041F4: D3D7009C 0E73A934
	v_mfma_i32_16x16x32_i8 v[156:159], a[54:55], v[214:215], v[156:159]// 0000000041FC: D3D7009C 0E73AD36
	v_mfma_i32_16x16x32_i8 v[156:159], a[56:57], v[216:217], v[156:159]// 000000004204: D3D7009C 0E73B138
	v_mfma_i32_16x16x32_i8 v[156:159], a[58:59], v[218:219], v[156:159]// 00000000420C: D3D7009C 0E73B53A
	buffer_load_dwordx4 a[124:127], v35, s[92:95], 0 offen offset:3072// 000000004214: E05C1C00 80977C23
	v_mfma_i32_16x16x32_i8 v[156:159], a[60:61], v[220:221], v[156:159]// 00000000421C: D3D7009C 0E73B93C
	v_mfma_i32_16x16x32_i8 v[156:159], a[62:63], v[222:223], v[156:159]// 000000004224: D3D7009C 0E73BD3E
	s_waitcnt vmcnt(8)                                         // 00000000422C: BF8C0F78
	s_barrier                                                  // 000000004230: BF8A0000
	v_mfma_i32_16x16x32_i8 v[64:67], a[64:65], v[192:193], v[64:67]// 000000004234: D3D70040 0D038140
	v_mfma_i32_16x16x32_i8 v[64:67], a[66:67], v[194:195], v[64:67]// 00000000423C: D3D70040 0D038542
	buffer_load_dwordx4 a[0:3], v32, s[24:27], 0 offen         // 000000004244: E05C1000 80860020
	v_mfma_i32_16x16x32_i8 v[64:67], a[68:69], v[196:197], v[64:67]// 00000000424C: D3D70040 0D038944
	v_mfma_i32_16x16x32_i8 v[64:67], a[70:71], v[198:199], v[64:67]// 000000004254: D3D70040 0D038D46
	v_mfma_i32_16x16x32_i8 v[64:67], a[72:73], v[200:201], v[64:67]// 00000000425C: D3D70040 0D039148
	v_mfma_i32_16x16x32_i8 v[64:67], a[74:75], v[202:203], v[64:67]// 000000004264: D3D70040 0D03954A
	buffer_load_dwordx4 a[4:7], v32, s[24:27], 0 offen offset:1024// 00000000426C: E05C1400 80860420
	v_mfma_i32_16x16x32_i8 v[64:67], a[76:77], v[204:205], v[64:67]// 000000004274: D3D70040 0D03994C
	v_mfma_i32_16x16x32_i8 v[64:67], a[78:79], v[206:207], v[64:67]// 00000000427C: D3D70040 0D039D4E
	v_mfma_i32_16x16x32_i8 v[68:71], a[64:65], v[208:209], v[68:71]// 000000004284: D3D70044 0D13A140
	v_mfma_i32_16x16x32_i8 v[68:71], a[66:67], v[210:211], v[68:71]// 00000000428C: D3D70044 0D13A542
	buffer_load_dwordx4 a[8:11], v32, s[24:27], 0 offen offset:2048// 000000004294: E05C1800 80860820
	v_mfma_i32_16x16x32_i8 v[68:71], a[68:69], v[212:213], v[68:71]// 00000000429C: D3D70044 0D13A944
	v_mfma_i32_16x16x32_i8 v[68:71], a[70:71], v[214:215], v[68:71]// 0000000042A4: D3D70044 0D13AD46
	v_mfma_i32_16x16x32_i8 v[68:71], a[72:73], v[216:217], v[68:71]// 0000000042AC: D3D70044 0D13B148
	v_mfma_i32_16x16x32_i8 v[68:71], a[74:75], v[218:219], v[68:71]// 0000000042B4: D3D70044 0D13B54A
	buffer_load_dwordx4 a[12:15], v32, s[24:27], 0 offen offset:3072// 0000000042BC: E05C1C00 80860C20
	v_mfma_i32_16x16x32_i8 v[68:71], a[76:77], v[220:221], v[68:71]// 0000000042C4: D3D70044 0D13B94C
	v_mfma_i32_16x16x32_i8 v[68:71], a[78:79], v[222:223], v[68:71]// 0000000042CC: D3D70044 0D13BD4E
	v_mfma_i32_16x16x32_i8 v[72:75], a[80:81], v[192:193], v[72:75]// 0000000042D4: D3D70048 0D238150
	v_mfma_i32_16x16x32_i8 v[72:75], a[82:83], v[194:195], v[72:75]// 0000000042DC: D3D70048 0D238552
	buffer_load_dwordx4 a[16:19], v33, s[24:27], 0 offen       // 0000000042E4: E05C1000 80861021
	v_mfma_i32_16x16x32_i8 v[72:75], a[84:85], v[196:197], v[72:75]// 0000000042EC: D3D70048 0D238954
	v_mfma_i32_16x16x32_i8 v[72:75], a[86:87], v[198:199], v[72:75]// 0000000042F4: D3D70048 0D238D56
	v_mfma_i32_16x16x32_i8 v[72:75], a[88:89], v[200:201], v[72:75]// 0000000042FC: D3D70048 0D239158
	v_mfma_i32_16x16x32_i8 v[72:75], a[90:91], v[202:203], v[72:75]// 000000004304: D3D70048 0D23955A
	buffer_load_dwordx4 a[20:23], v33, s[24:27], 0 offen offset:1024// 00000000430C: E05C1400 80861421
	v_mfma_i32_16x16x32_i8 v[72:75], a[92:93], v[204:205], v[72:75]// 000000004314: D3D70048 0D23995C
	v_mfma_i32_16x16x32_i8 v[72:75], a[94:95], v[206:207], v[72:75]// 00000000431C: D3D70048 0D239D5E
	v_mfma_i32_16x16x32_i8 v[76:79], a[80:81], v[208:209], v[76:79]// 000000004324: D3D7004C 0D33A150
	v_mfma_i32_16x16x32_i8 v[76:79], a[82:83], v[210:211], v[76:79]// 00000000432C: D3D7004C 0D33A552
	buffer_load_dwordx4 a[24:27], v33, s[24:27], 0 offen offset:2048// 000000004334: E05C1800 80861821
	v_mfma_i32_16x16x32_i8 v[76:79], a[84:85], v[212:213], v[76:79]// 00000000433C: D3D7004C 0D33A954
	v_mfma_i32_16x16x32_i8 v[76:79], a[86:87], v[214:215], v[76:79]// 000000004344: D3D7004C 0D33AD56
	v_mfma_i32_16x16x32_i8 v[76:79], a[88:89], v[216:217], v[76:79]// 00000000434C: D3D7004C 0D33B158
	v_mfma_i32_16x16x32_i8 v[76:79], a[90:91], v[218:219], v[76:79]// 000000004354: D3D7004C 0D33B55A
	buffer_load_dwordx4 a[28:31], v33, s[24:27], 0 offen offset:3072// 00000000435C: E05C1C00 80861C21
	v_mfma_i32_16x16x32_i8 v[76:79], a[92:93], v[220:221], v[76:79]// 000000004364: D3D7004C 0D33B95C
	v_mfma_i32_16x16x32_i8 v[76:79], a[94:95], v[222:223], v[76:79]// 00000000436C: D3D7004C 0D33BD5E
	s_waitcnt vmcnt(12)                                        // 000000004374: BF8C0F7C
	v_mfma_i32_16x16x32_i8 v[80:83], a[96:97], v[192:193], v[80:83]// 000000004378: D3D70050 0D438160
	v_mfma_i32_16x16x32_i8 v[80:83], a[98:99], v[194:195], v[80:83]// 000000004380: D3D70050 0D438562
	buffer_load_dwordx4 a[32:35], v34, s[24:27], 0 offen       // 000000004388: E05C1000 80862022
	v_mfma_i32_16x16x32_i8 v[80:83], a[100:101], v[196:197], v[80:83]// 000000004390: D3D70050 0D438964
	v_mfma_i32_16x16x32_i8 v[80:83], a[102:103], v[198:199], v[80:83]// 000000004398: D3D70050 0D438D66
	ds_read_b128 v[160:163], v2                                // 0000000043A0: D9FE0000 A0000002
	v_mfma_i32_16x16x32_i8 v[80:83], a[104:105], v[200:201], v[80:83]// 0000000043A8: D3D70050 0D439168
	v_mfma_i32_16x16x32_i8 v[80:83], a[106:107], v[202:203], v[80:83]// 0000000043B0: D3D70050 0D43956A
	buffer_load_dwordx4 a[36:39], v34, s[24:27], 0 offen offset:1024// 0000000043B8: E05C1400 80862422
	v_mfma_i32_16x16x32_i8 v[80:83], a[108:109], v[204:205], v[80:83]// 0000000043C0: D3D70050 0D43996C
	v_mfma_i32_16x16x32_i8 v[80:83], a[110:111], v[206:207], v[80:83]// 0000000043C8: D3D70050 0D439D6E
	ds_read_b128 v[164:167], v2 offset:64                      // 0000000043D0: D9FE0040 A4000002
	v_mfma_i32_16x16x32_i8 v[84:87], a[96:97], v[208:209], v[84:87]// 0000000043D8: D3D70054 0D53A160
	v_mfma_i32_16x16x32_i8 v[84:87], a[98:99], v[210:211], v[84:87]// 0000000043E0: D3D70054 0D53A562
	buffer_load_dwordx4 a[40:43], v34, s[24:27], 0 offen offset:2048// 0000000043E8: E05C1800 80862822
	v_mfma_i32_16x16x32_i8 v[84:87], a[100:101], v[212:213], v[84:87]// 0000000043F0: D3D70054 0D53A964
	v_mfma_i32_16x16x32_i8 v[84:87], a[102:103], v[214:215], v[84:87]// 0000000043F8: D3D70054 0D53AD66
	ds_read_b128 v[168:171], v2 offset:128                     // 000000004400: D9FE0080 A8000002
	v_mfma_i32_16x16x32_i8 v[84:87], a[104:105], v[216:217], v[84:87]// 000000004408: D3D70054 0D53B168
	v_mfma_i32_16x16x32_i8 v[84:87], a[106:107], v[218:219], v[84:87]// 000000004410: D3D70054 0D53B56A
	buffer_load_dwordx4 a[44:47], v34, s[24:27], 0 offen offset:3072// 000000004418: E05C1C00 80862C22
	v_mfma_i32_16x16x32_i8 v[84:87], a[108:109], v[220:221], v[84:87]// 000000004420: D3D70054 0D53B96C
	v_mfma_i32_16x16x32_i8 v[84:87], a[110:111], v[222:223], v[84:87]// 000000004428: D3D70054 0D53BD6E
	ds_read_b128 v[172:175], v2 offset:192                     // 000000004430: D9FE00C0 AC000002
	s_waitcnt vmcnt(12)                                        // 000000004438: BF8C0F7C
	v_mfma_i32_16x16x32_i8 v[88:91], a[112:113], v[192:193], v[88:91]// 00000000443C: D3D70058 0D638170
	v_mfma_i32_16x16x32_i8 v[88:91], a[114:115], v[194:195], v[88:91]// 000000004444: D3D70058 0D638572
	buffer_load_dwordx4 a[48:51], v35, s[24:27], 0 offen       // 00000000444C: E05C1000 80863023
	v_mfma_i32_16x16x32_i8 v[88:91], a[116:117], v[196:197], v[88:91]// 000000004454: D3D70058 0D638974
	v_mfma_i32_16x16x32_i8 v[88:91], a[118:119], v[198:199], v[88:91]// 00000000445C: D3D70058 0D638D76
	ds_read_b128 v[176:179], v2 offset:1024                    // 000000004464: D9FE0400 B0000002
	v_mfma_i32_16x16x32_i8 v[88:91], a[120:121], v[200:201], v[88:91]// 00000000446C: D3D70058 0D639178
	v_mfma_i32_16x16x32_i8 v[88:91], a[122:123], v[202:203], v[88:91]// 000000004474: D3D70058 0D63957A
	buffer_load_dwordx4 a[52:55], v35, s[24:27], 0 offen offset:1024// 00000000447C: E05C1400 80863423
	v_mfma_i32_16x16x32_i8 v[88:91], a[124:125], v[204:205], v[88:91]// 000000004484: D3D70058 0D63997C
	v_mfma_i32_16x16x32_i8 v[88:91], a[126:127], v[206:207], v[88:91]// 00000000448C: D3D70058 0D639D7E
	ds_read_b128 v[180:183], v2 offset:1088                    // 000000004494: D9FE0440 B4000002
	v_mfma_i32_16x16x32_i8 v[92:95], a[112:113], v[208:209], v[92:95]// 00000000449C: D3D7005C 0D73A170
	v_mfma_i32_16x16x32_i8 v[92:95], a[114:115], v[210:211], v[92:95]// 0000000044A4: D3D7005C 0D73A572
	buffer_load_dwordx4 a[56:59], v35, s[24:27], 0 offen offset:2048// 0000000044AC: E05C1800 80863823
	v_mfma_i32_16x16x32_i8 v[92:95], a[116:117], v[212:213], v[92:95]// 0000000044B4: D3D7005C 0D73A974
	v_mfma_i32_16x16x32_i8 v[92:95], a[118:119], v[214:215], v[92:95]// 0000000044BC: D3D7005C 0D73AD76
	ds_read_b128 v[184:187], v2 offset:1152                    // 0000000044C4: D9FE0480 B8000002
	v_mfma_i32_16x16x32_i8 v[92:95], a[120:121], v[216:217], v[92:95]// 0000000044CC: D3D7005C 0D73B178
	v_mfma_i32_16x16x32_i8 v[92:95], a[122:123], v[218:219], v[92:95]// 0000000044D4: D3D7005C 0D73B57A
	buffer_load_dwordx4 a[60:63], v35, s[24:27], 0 offen offset:3072// 0000000044DC: E05C1C00 80863C23
	v_mfma_i32_16x16x32_i8 v[92:95], a[124:125], v[220:221], v[92:95]// 0000000044E4: D3D7005C 0D73B97C
	v_mfma_i32_16x16x32_i8 v[92:95], a[126:127], v[222:223], v[92:95]// 0000000044EC: D3D7005C 0D73BD7E
	ds_read_b128 v[188:191], v2 offset:1216                    // 0000000044F4: D9FE04C0 BC000002
	s_add_u32 s60, 0x200, s80                                  // 0000000044FC: 803C50FF 00000200
	s_cmp_lt_u32 s60, s81                                      // 000000004504: BF0A513C
	s_cselect_b32 s57, s57, 0                                  // 000000004508: 85398039
	s_add_u32 s60, 0x200, s80                                  // 00000000450C: 803C50FF 00000200
	s_cmp_lt_u32 s60, s81                                      // 000000004514: BF0A513C
	s_cselect_b32 s58, s58, 0                                  // 000000004518: 853A803A
	s_add_u32 s20, s57, s20                                    // 00000000451C: 80141439
	s_addc_u32 s21, 0, s21                                     // 000000004520: 82151580
	s_add_u32 s24, s58, s24                                    // 000000004524: 8018183A
	s_addc_u32 s25, 0, s25                                     // 000000004528: 82191980
	s_add_u32 s92, s90, s92                                    // 00000000452C: 805C5C5A
	s_addc_u32 s93, 0, s93                                     // 000000004530: 825D5D80
	s_addk_i32 s80, 0x100                                      // 000000004534: B7500100
	s_cmp_lt_i32 s80, s81                                      // 000000004538: BF045150
	s_cbranch_scc0 label_05D1                                  // 00000000453C: BF840001
	s_branch label_02C0                                        // 000000004540: BF82FCEF

0000000000004544 <label_05D1>:
	s_mov_b32 s36, -1                                          // 000000004544: BEA400C1
	s_mov_b32 s37, -1                                          // 000000004548: BEA500C1
	s_mov_b64 s[60:61], 0                                      // 00000000454C: BEBC0180
	s_cmp_lt_u32 s82, s66                                      // 000000004550: BF0A4252
	s_cselect_b64 s[20:21], s[36:37], s[60:61]                 // 000000004554: 85943C24
	s_cmp_lt_u32 s83, s66                                      // 000000004558: BF0A4253
	s_cselect_b64 s[22:23], s[36:37], s[60:61]                 // 00000000455C: 85963C24
	s_cmp_lt_u32 s84, s66                                      // 000000004560: BF0A4254
	s_cselect_b64 s[24:25], s[36:37], s[60:61]                 // 000000004564: 85983C24
	s_cmp_lt_u32 s85, s66                                      // 000000004568: BF0A4255
	s_cselect_b64 s[26:27], s[36:37], s[60:61]                 // 00000000456C: 859A3C24
	s_cmp_lt_u32 s86, s66                                      // 000000004570: BF0A4256
	s_cselect_b64 s[28:29], s[36:37], s[60:61]                 // 000000004574: 859C3C24
	s_cmp_lt_u32 s87, s66                                      // 000000004578: BF0A4257
	s_cselect_b64 s[30:31], s[36:37], s[60:61]                 // 00000000457C: 859E3C24
	s_cmp_lt_u32 s88, s66                                      // 000000004580: BF0A4258
	s_cselect_b64 s[32:33], s[36:37], s[60:61]                 // 000000004584: 85A03C24
	s_cmp_lt_u32 s89, s66                                      // 000000004588: BF0A4259
	s_cselect_b64 s[34:35], s[36:37], s[60:61]                 // 00000000458C: 85A23C24
	v_cvt_f32_i32_e32 v128, v128                               // 000000004590: 7F000B80
	v_cvt_f32_i32_e32 v129, v129                               // 000000004594: 7F020B81
	v_cvt_f32_i32_e32 v130, v130                               // 000000004598: 7F040B82
	v_cvt_f32_i32_e32 v131, v131                               // 00000000459C: 7F060B83
	v_mul_f32_e32 v128, v13, v128                              // 0000000045A0: 0B01010D
	v_mul_f32_e32 v129, v13, v129                              // 0000000045A4: 0B03030D
	v_mul_f32_e32 v130, v13, v130                              // 0000000045A8: 0B05050D
	v_mul_f32_e32 v131, v13, v131                              // 0000000045AC: 0B07070D
	v_mul_f32_dpp v128, v15, v128 row_newbcast:0 row_mask:0xf bank_mask:0xf// 0000000045B0: 0B0100FA FF01500F
	v_mul_f32_dpp v129, v15, v129 row_newbcast:1 row_mask:0xf bank_mask:0xf// 0000000045B8: 0B0302FA FF01510F
	v_mul_f32_dpp v130, v15, v130 row_newbcast:2 row_mask:0xf bank_mask:0xf// 0000000045C0: 0B0504FA FF01520F
	v_mul_f32_dpp v131, v15, v131 row_newbcast:3 row_mask:0xf bank_mask:0xf// 0000000045C8: 0B0706FA FF01530F
	v_cvt_f32_i32_e32 v132, v132                               // 0000000045D0: 7F080B84
	v_cvt_f32_i32_e32 v133, v133                               // 0000000045D4: 7F0A0B85
	v_cvt_f32_i32_e32 v134, v134                               // 0000000045D8: 7F0C0B86
	v_cvt_f32_i32_e32 v135, v135                               // 0000000045DC: 7F0E0B87
	v_mul_f32_e32 v132, v14, v132                              // 0000000045E0: 0B09090E
	v_mul_f32_e32 v133, v14, v133                              // 0000000045E4: 0B0B0B0E
	v_mul_f32_e32 v134, v14, v134                              // 0000000045E8: 0B0D0D0E
	v_mul_f32_e32 v135, v14, v135                              // 0000000045EC: 0B0F0F0E
	v_mul_f32_dpp v132, v15, v132 row_newbcast:0 row_mask:0xf bank_mask:0xf// 0000000045F0: 0B0908FA FF01500F
	v_mul_f32_dpp v133, v15, v133 row_newbcast:1 row_mask:0xf bank_mask:0xf// 0000000045F8: 0B0B0AFA FF01510F
	v_mul_f32_dpp v134, v15, v134 row_newbcast:2 row_mask:0xf bank_mask:0xf// 000000004600: 0B0D0CFA FF01520F
	v_mul_f32_dpp v135, v15, v135 row_newbcast:3 row_mask:0xf bank_mask:0xf// 000000004608: 0B0F0EFA FF01530F
	v_cvt_f32_i32_e32 v136, v136                               // 000000004610: 7F100B88
	v_cvt_f32_i32_e32 v137, v137                               // 000000004614: 7F120B89
	v_cvt_f32_i32_e32 v138, v138                               // 000000004618: 7F140B8A
	v_cvt_f32_i32_e32 v139, v139                               // 00000000461C: 7F160B8B
	v_mul_f32_e32 v136, v13, v136                              // 000000004620: 0B11110D
	v_mul_f32_e32 v137, v13, v137                              // 000000004624: 0B13130D
	v_mul_f32_e32 v138, v13, v138                              // 000000004628: 0B15150D
	v_mul_f32_e32 v139, v13, v139                              // 00000000462C: 0B17170D
	v_mul_f32_dpp v136, v15, v136 row_newbcast:4 row_mask:0xf bank_mask:0xf// 000000004630: 0B1110FA FF01540F
	v_mul_f32_dpp v137, v15, v137 row_newbcast:5 row_mask:0xf bank_mask:0xf// 000000004638: 0B1312FA FF01550F
	v_mul_f32_dpp v138, v15, v138 row_newbcast:6 row_mask:0xf bank_mask:0xf// 000000004640: 0B1514FA FF01560F
	v_mul_f32_dpp v139, v15, v139 row_newbcast:7 row_mask:0xf bank_mask:0xf// 000000004648: 0B1716FA FF01570F
	v_cvt_f32_i32_e32 v140, v140                               // 000000004650: 7F180B8C
	v_cvt_f32_i32_e32 v141, v141                               // 000000004654: 7F1A0B8D
	v_cvt_f32_i32_e32 v142, v142                               // 000000004658: 7F1C0B8E
	v_cvt_f32_i32_e32 v143, v143                               // 00000000465C: 7F1E0B8F
	v_mul_f32_e32 v140, v14, v140                              // 000000004660: 0B19190E
	v_mul_f32_e32 v141, v14, v141                              // 000000004664: 0B1B1B0E
	v_mul_f32_e32 v142, v14, v142                              // 000000004668: 0B1D1D0E
	v_mul_f32_e32 v143, v14, v143                              // 00000000466C: 0B1F1F0E
	v_mul_f32_dpp v140, v15, v140 row_newbcast:4 row_mask:0xf bank_mask:0xf// 000000004670: 0B1918FA FF01540F
	v_mul_f32_dpp v141, v15, v141 row_newbcast:5 row_mask:0xf bank_mask:0xf// 000000004678: 0B1B1AFA FF01550F
	v_mul_f32_dpp v142, v15, v142 row_newbcast:6 row_mask:0xf bank_mask:0xf// 000000004680: 0B1D1CFA FF01560F
	v_mul_f32_dpp v143, v15, v143 row_newbcast:7 row_mask:0xf bank_mask:0xf// 000000004688: 0B1F1EFA FF01570F
	v_cvt_f32_i32_e32 v144, v144                               // 000000004690: 7F200B90
	v_cvt_f32_i32_e32 v145, v145                               // 000000004694: 7F220B91
	v_cvt_f32_i32_e32 v146, v146                               // 000000004698: 7F240B92
	v_cvt_f32_i32_e32 v147, v147                               // 00000000469C: 7F260B93
	v_mul_f32_e32 v144, v13, v144                              // 0000000046A0: 0B21210D
	v_mul_f32_e32 v145, v13, v145                              // 0000000046A4: 0B23230D
	v_mul_f32_e32 v146, v13, v146                              // 0000000046A8: 0B25250D
	v_mul_f32_e32 v147, v13, v147                              // 0000000046AC: 0B27270D
	v_mul_f32_dpp v144, v15, v144 row_newbcast:8 row_mask:0xf bank_mask:0xf// 0000000046B0: 0B2120FA FF01580F
	v_mul_f32_dpp v145, v15, v145 row_newbcast:9 row_mask:0xf bank_mask:0xf// 0000000046B8: 0B2322FA FF01590F
	v_mul_f32_dpp v146, v15, v146 row_newbcast:10 row_mask:0xf bank_mask:0xf// 0000000046C0: 0B2524FA FF015A0F
	v_mul_f32_dpp v147, v15, v147 row_newbcast:11 row_mask:0xf bank_mask:0xf// 0000000046C8: 0B2726FA FF015B0F
	v_cvt_f32_i32_e32 v148, v148                               // 0000000046D0: 7F280B94
	v_cvt_f32_i32_e32 v149, v149                               // 0000000046D4: 7F2A0B95
	v_cvt_f32_i32_e32 v150, v150                               // 0000000046D8: 7F2C0B96
	v_cvt_f32_i32_e32 v151, v151                               // 0000000046DC: 7F2E0B97
	v_mul_f32_e32 v148, v14, v148                              // 0000000046E0: 0B29290E
	v_mul_f32_e32 v149, v14, v149                              // 0000000046E4: 0B2B2B0E
	v_mul_f32_e32 v150, v14, v150                              // 0000000046E8: 0B2D2D0E
	v_mul_f32_e32 v151, v14, v151                              // 0000000046EC: 0B2F2F0E
	v_mul_f32_dpp v148, v15, v148 row_newbcast:8 row_mask:0xf bank_mask:0xf// 0000000046F0: 0B2928FA FF01580F
	v_mul_f32_dpp v149, v15, v149 row_newbcast:9 row_mask:0xf bank_mask:0xf// 0000000046F8: 0B2B2AFA FF01590F
	v_mul_f32_dpp v150, v15, v150 row_newbcast:10 row_mask:0xf bank_mask:0xf// 000000004700: 0B2D2CFA FF015A0F
	v_mul_f32_dpp v151, v15, v151 row_newbcast:11 row_mask:0xf bank_mask:0xf// 000000004708: 0B2F2EFA FF015B0F
	v_cvt_f32_i32_e32 v152, v152                               // 000000004710: 7F300B98
	v_cvt_f32_i32_e32 v153, v153                               // 000000004714: 7F320B99
	v_cvt_f32_i32_e32 v154, v154                               // 000000004718: 7F340B9A
	v_cvt_f32_i32_e32 v155, v155                               // 00000000471C: 7F360B9B
	v_mul_f32_e32 v152, v13, v152                              // 000000004720: 0B31310D
	v_mul_f32_e32 v153, v13, v153                              // 000000004724: 0B33330D
	v_mul_f32_e32 v154, v13, v154                              // 000000004728: 0B35350D
	v_mul_f32_e32 v155, v13, v155                              // 00000000472C: 0B37370D
	v_mul_f32_dpp v152, v15, v152 row_newbcast:12 row_mask:0xf bank_mask:0xf// 000000004730: 0B3130FA FF015C0F
	v_mul_f32_dpp v153, v15, v153 row_newbcast:13 row_mask:0xf bank_mask:0xf// 000000004738: 0B3332FA FF015D0F
	v_mul_f32_dpp v154, v15, v154 row_newbcast:14 row_mask:0xf bank_mask:0xf// 000000004740: 0B3534FA FF015E0F
	v_mul_f32_dpp v155, v15, v155 row_newbcast:15 row_mask:0xf bank_mask:0xf// 000000004748: 0B3736FA FF015F0F
	v_cvt_f32_i32_e32 v156, v156                               // 000000004750: 7F380B9C
	v_cvt_f32_i32_e32 v157, v157                               // 000000004754: 7F3A0B9D
	v_cvt_f32_i32_e32 v158, v158                               // 000000004758: 7F3C0B9E
	v_cvt_f32_i32_e32 v159, v159                               // 00000000475C: 7F3E0B9F
	v_mul_f32_e32 v156, v14, v156                              // 000000004760: 0B39390E
	v_mul_f32_e32 v157, v14, v157                              // 000000004764: 0B3B3B0E
	v_mul_f32_e32 v158, v14, v158                              // 000000004768: 0B3D3D0E
	v_mul_f32_e32 v159, v14, v159                              // 00000000476C: 0B3F3F0E
	v_mul_f32_dpp v156, v15, v156 row_newbcast:12 row_mask:0xf bank_mask:0xf// 000000004770: 0B3938FA FF015C0F
	v_mul_f32_dpp v157, v15, v157 row_newbcast:13 row_mask:0xf bank_mask:0xf// 000000004778: 0B3B3AFA FF015D0F
	v_mul_f32_dpp v158, v15, v158 row_newbcast:14 row_mask:0xf bank_mask:0xf// 000000004780: 0B3D3CFA FF015E0F
	v_mul_f32_dpp v159, v15, v159 row_newbcast:15 row_mask:0xf bank_mask:0xf// 000000004788: 0B3F3EFA FF015F0F
	v_cvt_f32_i32_e32 v64, v64                                 // 000000004790: 7E800B40
	v_cvt_f32_i32_e32 v65, v65                                 // 000000004794: 7E820B41
	v_cvt_f32_i32_e32 v66, v66                                 // 000000004798: 7E840B42
	v_cvt_f32_i32_e32 v67, v67                                 // 00000000479C: 7E860B43
	v_mul_f32_e32 v64, v13, v64                                // 0000000047A0: 0A80810D
	v_mul_f32_e32 v65, v13, v65                                // 0000000047A4: 0A82830D
	v_mul_f32_e32 v66, v13, v66                                // 0000000047A8: 0A84850D
	v_mul_f32_e32 v67, v13, v67                                // 0000000047AC: 0A86870D
	v_mul_f32_dpp v64, v44, v64 row_newbcast:0 row_mask:0xf bank_mask:0xf// 0000000047B0: 0A8080FA FF01502C
	v_mul_f32_dpp v65, v44, v65 row_newbcast:1 row_mask:0xf bank_mask:0xf// 0000000047B8: 0A8282FA FF01512C
	v_mul_f32_dpp v66, v44, v66 row_newbcast:2 row_mask:0xf bank_mask:0xf// 0000000047C0: 0A8484FA FF01522C
	v_mul_f32_dpp v67, v44, v67 row_newbcast:3 row_mask:0xf bank_mask:0xf// 0000000047C8: 0A8686FA FF01532C
	v_cvt_f32_i32_e32 v68, v68                                 // 0000000047D0: 7E880B44
	v_cvt_f32_i32_e32 v69, v69                                 // 0000000047D4: 7E8A0B45
	v_cvt_f32_i32_e32 v70, v70                                 // 0000000047D8: 7E8C0B46
	v_cvt_f32_i32_e32 v71, v71                                 // 0000000047DC: 7E8E0B47
	v_mul_f32_e32 v68, v14, v68                                // 0000000047E0: 0A88890E
	v_mul_f32_e32 v69, v14, v69                                // 0000000047E4: 0A8A8B0E
	v_mul_f32_e32 v70, v14, v70                                // 0000000047E8: 0A8C8D0E
	v_mul_f32_e32 v71, v14, v71                                // 0000000047EC: 0A8E8F0E
	v_mul_f32_dpp v68, v44, v68 row_newbcast:0 row_mask:0xf bank_mask:0xf// 0000000047F0: 0A8888FA FF01502C
	v_mul_f32_dpp v69, v44, v69 row_newbcast:1 row_mask:0xf bank_mask:0xf// 0000000047F8: 0A8A8AFA FF01512C
	v_mul_f32_dpp v70, v44, v70 row_newbcast:2 row_mask:0xf bank_mask:0xf// 000000004800: 0A8C8CFA FF01522C
	v_mul_f32_dpp v71, v44, v71 row_newbcast:3 row_mask:0xf bank_mask:0xf// 000000004808: 0A8E8EFA FF01532C
	v_cvt_f32_i32_e32 v72, v72                                 // 000000004810: 7E900B48
	v_cvt_f32_i32_e32 v73, v73                                 // 000000004814: 7E920B49
	v_cvt_f32_i32_e32 v74, v74                                 // 000000004818: 7E940B4A
	v_cvt_f32_i32_e32 v75, v75                                 // 00000000481C: 7E960B4B
	v_mul_f32_e32 v72, v13, v72                                // 000000004820: 0A90910D
	v_mul_f32_e32 v73, v13, v73                                // 000000004824: 0A92930D
	v_mul_f32_e32 v74, v13, v74                                // 000000004828: 0A94950D
	v_mul_f32_e32 v75, v13, v75                                // 00000000482C: 0A96970D
	v_mul_f32_dpp v72, v44, v72 row_newbcast:4 row_mask:0xf bank_mask:0xf// 000000004830: 0A9090FA FF01542C
	v_mul_f32_dpp v73, v44, v73 row_newbcast:5 row_mask:0xf bank_mask:0xf// 000000004838: 0A9292FA FF01552C
	v_mul_f32_dpp v74, v44, v74 row_newbcast:6 row_mask:0xf bank_mask:0xf// 000000004840: 0A9494FA FF01562C
	v_mul_f32_dpp v75, v44, v75 row_newbcast:7 row_mask:0xf bank_mask:0xf// 000000004848: 0A9696FA FF01572C
	v_cvt_f32_i32_e32 v76, v76                                 // 000000004850: 7E980B4C
	v_cvt_f32_i32_e32 v77, v77                                 // 000000004854: 7E9A0B4D
	v_cvt_f32_i32_e32 v78, v78                                 // 000000004858: 7E9C0B4E
	v_cvt_f32_i32_e32 v79, v79                                 // 00000000485C: 7E9E0B4F
	v_mul_f32_e32 v76, v14, v76                                // 000000004860: 0A98990E
	v_mul_f32_e32 v77, v14, v77                                // 000000004864: 0A9A9B0E
	v_mul_f32_e32 v78, v14, v78                                // 000000004868: 0A9C9D0E
	v_mul_f32_e32 v79, v14, v79                                // 00000000486C: 0A9E9F0E
	v_mul_f32_dpp v76, v44, v76 row_newbcast:4 row_mask:0xf bank_mask:0xf// 000000004870: 0A9898FA FF01542C
	v_mul_f32_dpp v77, v44, v77 row_newbcast:5 row_mask:0xf bank_mask:0xf// 000000004878: 0A9A9AFA FF01552C
	v_mul_f32_dpp v78, v44, v78 row_newbcast:6 row_mask:0xf bank_mask:0xf// 000000004880: 0A9C9CFA FF01562C
	v_mul_f32_dpp v79, v44, v79 row_newbcast:7 row_mask:0xf bank_mask:0xf// 000000004888: 0A9E9EFA FF01572C
	v_cvt_f32_i32_e32 v80, v80                                 // 000000004890: 7EA00B50
	v_cvt_f32_i32_e32 v81, v81                                 // 000000004894: 7EA20B51
	v_cvt_f32_i32_e32 v82, v82                                 // 000000004898: 7EA40B52
	v_cvt_f32_i32_e32 v83, v83                                 // 00000000489C: 7EA60B53
	v_mul_f32_e32 v80, v13, v80                                // 0000000048A0: 0AA0A10D
	v_mul_f32_e32 v81, v13, v81                                // 0000000048A4: 0AA2A30D
	v_mul_f32_e32 v82, v13, v82                                // 0000000048A8: 0AA4A50D
	v_mul_f32_e32 v83, v13, v83                                // 0000000048AC: 0AA6A70D
	v_mul_f32_dpp v80, v44, v80 row_newbcast:8 row_mask:0xf bank_mask:0xf// 0000000048B0: 0AA0A0FA FF01582C
	v_mul_f32_dpp v81, v44, v81 row_newbcast:9 row_mask:0xf bank_mask:0xf// 0000000048B8: 0AA2A2FA FF01592C
	v_mul_f32_dpp v82, v44, v82 row_newbcast:10 row_mask:0xf bank_mask:0xf// 0000000048C0: 0AA4A4FA FF015A2C
	v_mul_f32_dpp v83, v44, v83 row_newbcast:11 row_mask:0xf bank_mask:0xf// 0000000048C8: 0AA6A6FA FF015B2C
	v_cvt_f32_i32_e32 v84, v84                                 // 0000000048D0: 7EA80B54
	v_cvt_f32_i32_e32 v85, v85                                 // 0000000048D4: 7EAA0B55
	v_cvt_f32_i32_e32 v86, v86                                 // 0000000048D8: 7EAC0B56
	v_cvt_f32_i32_e32 v87, v87                                 // 0000000048DC: 7EAE0B57
	v_mul_f32_e32 v84, v14, v84                                // 0000000048E0: 0AA8A90E
	v_mul_f32_e32 v85, v14, v85                                // 0000000048E4: 0AAAAB0E
	v_mul_f32_e32 v86, v14, v86                                // 0000000048E8: 0AACAD0E
	v_mul_f32_e32 v87, v14, v87                                // 0000000048EC: 0AAEAF0E
	v_mul_f32_dpp v84, v44, v84 row_newbcast:8 row_mask:0xf bank_mask:0xf// 0000000048F0: 0AA8A8FA FF01582C
	v_mul_f32_dpp v85, v44, v85 row_newbcast:9 row_mask:0xf bank_mask:0xf// 0000000048F8: 0AAAAAFA FF01592C
	v_mul_f32_dpp v86, v44, v86 row_newbcast:10 row_mask:0xf bank_mask:0xf// 000000004900: 0AACACFA FF015A2C
	v_mul_f32_dpp v87, v44, v87 row_newbcast:11 row_mask:0xf bank_mask:0xf// 000000004908: 0AAEAEFA FF015B2C
	v_cvt_f32_i32_e32 v88, v88                                 // 000000004910: 7EB00B58
	v_cvt_f32_i32_e32 v89, v89                                 // 000000004914: 7EB20B59
	v_cvt_f32_i32_e32 v90, v90                                 // 000000004918: 7EB40B5A
	v_cvt_f32_i32_e32 v91, v91                                 // 00000000491C: 7EB60B5B
	v_mul_f32_e32 v88, v13, v88                                // 000000004920: 0AB0B10D
	v_mul_f32_e32 v89, v13, v89                                // 000000004924: 0AB2B30D
	v_mul_f32_e32 v90, v13, v90                                // 000000004928: 0AB4B50D
	v_mul_f32_e32 v91, v13, v91                                // 00000000492C: 0AB6B70D
	v_mul_f32_dpp v88, v44, v88 row_newbcast:12 row_mask:0xf bank_mask:0xf// 000000004930: 0AB0B0FA FF015C2C
	v_mul_f32_dpp v89, v44, v89 row_newbcast:13 row_mask:0xf bank_mask:0xf// 000000004938: 0AB2B2FA FF015D2C
	v_mul_f32_dpp v90, v44, v90 row_newbcast:14 row_mask:0xf bank_mask:0xf// 000000004940: 0AB4B4FA FF015E2C
	v_mul_f32_dpp v91, v44, v91 row_newbcast:15 row_mask:0xf bank_mask:0xf// 000000004948: 0AB6B6FA FF015F2C
	v_cvt_f32_i32_e32 v92, v92                                 // 000000004950: 7EB80B5C
	v_cvt_f32_i32_e32 v93, v93                                 // 000000004954: 7EBA0B5D
	v_cvt_f32_i32_e32 v94, v94                                 // 000000004958: 7EBC0B5E
	v_cvt_f32_i32_e32 v95, v95                                 // 00000000495C: 7EBE0B5F
	v_mul_f32_e32 v92, v14, v92                                // 000000004960: 0AB8B90E
	v_mul_f32_e32 v93, v14, v93                                // 000000004964: 0ABABB0E
	v_mul_f32_e32 v94, v14, v94                                // 000000004968: 0ABCBD0E
	v_mul_f32_e32 v95, v14, v95                                // 00000000496C: 0ABEBF0E
	v_mul_f32_dpp v92, v44, v92 row_newbcast:12 row_mask:0xf bank_mask:0xf// 000000004970: 0AB8B8FA FF015C2C
	v_mul_f32_dpp v93, v44, v93 row_newbcast:13 row_mask:0xf bank_mask:0xf// 000000004978: 0ABABAFA FF015D2C
	v_mul_f32_dpp v94, v44, v94 row_newbcast:14 row_mask:0xf bank_mask:0xf// 000000004980: 0ABCBCFA FF015E2C
	v_mul_f32_dpp v95, v44, v95 row_newbcast:15 row_mask:0xf bank_mask:0xf// 000000004988: 0ABEBEFA FF015F2C
	s_waitcnt vmcnt(12)                                        // 000000004990: BF8C0F7C
	buffer_load_dwordx4 a[0:3], v36, s[12:15], 0 offen         // 000000004994: E05C1000 80830024
	v_mul_f32_e32 v46, v128, v128                              // 00000000499C: 0A5D0180
	v_mul_f32_e32 v47, v129, v129                              // 0000000049A0: 0A5F0381
	v_mul_f32_e32 v48, v130, v130                              // 0000000049A4: 0A610582
	v_mul_f32_e32 v49, v131, v131                              // 0000000049A8: 0A630783
	v_fma_f32 v46, v46, s77, v1                                // 0000000049AC: D1CB002E 04049B2E
	v_fma_f32 v47, v47, s77, v1                                // 0000000049B4: D1CB002F 04049B2F
	v_fma_f32 v48, v48, s77, v1                                // 0000000049BC: D1CB0030 04049B30
	v_fma_f32 v49, v49, s77, v1                                // 0000000049C4: D1CB0031 04049B31
	v_mul_f32_e32 v46, v46, v128                               // 0000000049CC: 0A5D012E
	v_mul_f32_e32 v47, v47, v129                               // 0000000049D0: 0A5F032F
	v_mul_f32_e32 v48, v48, v130                               // 0000000049D4: 0A610530
	v_mul_f32_e32 v49, v49, v131                               // 0000000049D8: 0A630731
	v_mul_f32_e64 v46, v46, s6                                 // 0000000049DC: D105002E 00000D2E
	v_mul_f32_e64 v47, v47, s6                                 // 0000000049E4: D105002F 00000D2F
	v_mul_f32_e64 v48, v48, s6                                 // 0000000049EC: D1050030 00000D30
	v_mul_f32_e64 v49, v49, s6                                 // 0000000049F4: D1050031 00000D31
	v_exp_f32_e32 v46, v46                                     // 0000000049FC: 7E5C412E
	v_exp_f32_e32 v47, v47                                     // 000000004A00: 7E5E412F
	v_exp_f32_e32 v48, v48                                     // 000000004A04: 7E604130
	v_exp_f32_e32 v49, v49                                     // 000000004A08: 7E624131
	buffer_load_dwordx4 a[4:7], v37, s[12:15], 0 offen         // 000000004A0C: E05C1000 80830425
	v_add_f32_e64 v46, v46, 1.0                                // 000000004A14: D101002E 0001E52E
	v_add_f32_e64 v47, v47, 1.0                                // 000000004A1C: D101002F 0001E52F
	v_add_f32_e64 v48, v48, 1.0                                // 000000004A24: D1010030 0001E530
	v_add_f32_e64 v49, v49, 1.0                                // 000000004A2C: D1010031 0001E531
	v_rcp_f32_e32 v46, v46                                     // 000000004A34: 7E5C452E
	v_rcp_f32_e32 v47, v47                                     // 000000004A38: 7E5E452F
	v_rcp_f32_e32 v48, v48                                     // 000000004A3C: 7E604530
	v_rcp_f32_e32 v49, v49                                     // 000000004A40: 7E624531
	v_mul_f32_e32 v128, v128, v46                              // 000000004A44: 0B005D80
	v_mul_f32_e32 v129, v129, v47                              // 000000004A48: 0B025F81
	v_mul_f32_e32 v130, v130, v48                              // 000000004A4C: 0B046182
	v_mul_f32_e32 v131, v131, v49                              // 000000004A50: 0B066383
	v_mul_f32_e32 v128, v128, v64                              // 000000004A54: 0B008180
	v_mul_f32_e32 v129, v129, v65                              // 000000004A58: 0B028381
	v_mul_f32_e32 v130, v130, v66                              // 000000004A5C: 0B048582
	v_mul_f32_e32 v131, v131, v67                              // 000000004A60: 0B068783
	buffer_load_dwordx4 a[8:11], v38, s[12:15], 0 offen        // 000000004A64: E05C1000 80830826
	v_mul_f32_e32 v46, v132, v132                              // 000000004A6C: 0A5D0984
	v_mul_f32_e32 v47, v133, v133                              // 000000004A70: 0A5F0B85
	v_mul_f32_e32 v48, v134, v134                              // 000000004A74: 0A610D86
	v_mul_f32_e32 v49, v135, v135                              // 000000004A78: 0A630F87
	v_fma_f32 v46, v46, s77, v1                                // 000000004A7C: D1CB002E 04049B2E
	v_fma_f32 v47, v47, s77, v1                                // 000000004A84: D1CB002F 04049B2F
	v_fma_f32 v48, v48, s77, v1                                // 000000004A8C: D1CB0030 04049B30
	v_fma_f32 v49, v49, s77, v1                                // 000000004A94: D1CB0031 04049B31
	v_mul_f32_e32 v46, v46, v132                               // 000000004A9C: 0A5D092E
	v_mul_f32_e32 v47, v47, v133                               // 000000004AA0: 0A5F0B2F
	v_mul_f32_e32 v48, v48, v134                               // 000000004AA4: 0A610D30
	v_mul_f32_e32 v49, v49, v135                               // 000000004AA8: 0A630F31
	v_mul_f32_e64 v46, v46, s6                                 // 000000004AAC: D105002E 00000D2E
	v_mul_f32_e64 v47, v47, s6                                 // 000000004AB4: D105002F 00000D2F
	v_mul_f32_e64 v48, v48, s6                                 // 000000004ABC: D1050030 00000D30
	v_mul_f32_e64 v49, v49, s6                                 // 000000004AC4: D1050031 00000D31
	v_exp_f32_e32 v46, v46                                     // 000000004ACC: 7E5C412E
	v_exp_f32_e32 v47, v47                                     // 000000004AD0: 7E5E412F
	v_exp_f32_e32 v48, v48                                     // 000000004AD4: 7E604130
	v_exp_f32_e32 v49, v49                                     // 000000004AD8: 7E624131
	buffer_load_dwordx4 a[12:15], v39, s[12:15], 0 offen       // 000000004ADC: E05C1000 80830C27
	s_add_u32 s12, s78, s12                                    // 000000004AE4: 800C0C4E
	s_addc_u32 s13, 0, s13                                     // 000000004AE8: 820D0D80
	v_add_f32_e64 v46, v46, 1.0                                // 000000004AEC: D101002E 0001E52E
	v_add_f32_e64 v47, v47, 1.0                                // 000000004AF4: D101002F 0001E52F
	v_add_f32_e64 v48, v48, 1.0                                // 000000004AFC: D1010030 0001E530
	v_add_f32_e64 v49, v49, 1.0                                // 000000004B04: D1010031 0001E531
	v_rcp_f32_e32 v46, v46                                     // 000000004B0C: 7E5C452E
	v_rcp_f32_e32 v47, v47                                     // 000000004B10: 7E5E452F
	v_rcp_f32_e32 v48, v48                                     // 000000004B14: 7E604530
	v_rcp_f32_e32 v49, v49                                     // 000000004B18: 7E624531
	v_mul_f32_e32 v132, v132, v46                              // 000000004B1C: 0B085D84
	v_mul_f32_e32 v133, v133, v47                              // 000000004B20: 0B0A5F85
	v_mul_f32_e32 v134, v134, v48                              // 000000004B24: 0B0C6186
	v_mul_f32_e32 v135, v135, v49                              // 000000004B28: 0B0E6387
	v_mul_f32_e32 v132, v132, v68                              // 000000004B2C: 0B088984
	v_mul_f32_e32 v133, v133, v69                              // 000000004B30: 0B0A8B85
	v_mul_f32_e32 v134, v134, v70                              // 000000004B34: 0B0C8D86
	v_mul_f32_e32 v135, v135, v71                              // 000000004B38: 0B0E8F87
	s_waitcnt vmcnt(12)                                        // 000000004B3C: BF8C0F7C
	buffer_load_dwordx4 a[16:19], v36, s[12:15], 0 offen       // 000000004B40: E05C1000 80831024
	v_mul_f32_e32 v46, v136, v136                              // 000000004B48: 0A5D1188
	v_mul_f32_e32 v47, v137, v137                              // 000000004B4C: 0A5F1389
	v_mul_f32_e32 v48, v138, v138                              // 000000004B50: 0A61158A
	v_mul_f32_e32 v49, v139, v139                              // 000000004B54: 0A63178B
	v_fma_f32 v46, v46, s77, v1                                // 000000004B58: D1CB002E 04049B2E
	v_fma_f32 v47, v47, s77, v1                                // 000000004B60: D1CB002F 04049B2F
	v_fma_f32 v48, v48, s77, v1                                // 000000004B68: D1CB0030 04049B30
	v_fma_f32 v49, v49, s77, v1                                // 000000004B70: D1CB0031 04049B31
	v_mul_f32_e32 v46, v46, v136                               // 000000004B78: 0A5D112E
	v_mul_f32_e32 v47, v47, v137                               // 000000004B7C: 0A5F132F
	v_mul_f32_e32 v48, v48, v138                               // 000000004B80: 0A611530
	v_mul_f32_e32 v49, v49, v139                               // 000000004B84: 0A631731
	v_mul_f32_e64 v46, v46, s6                                 // 000000004B88: D105002E 00000D2E
	v_mul_f32_e64 v47, v47, s6                                 // 000000004B90: D105002F 00000D2F
	v_mul_f32_e64 v48, v48, s6                                 // 000000004B98: D1050030 00000D30
	v_mul_f32_e64 v49, v49, s6                                 // 000000004BA0: D1050031 00000D31
	v_exp_f32_e32 v46, v46                                     // 000000004BA8: 7E5C412E
	v_exp_f32_e32 v47, v47                                     // 000000004BAC: 7E5E412F
	v_exp_f32_e32 v48, v48                                     // 000000004BB0: 7E604130
	v_exp_f32_e32 v49, v49                                     // 000000004BB4: 7E624131
	buffer_load_dwordx4 a[20:23], v37, s[12:15], 0 offen       // 000000004BB8: E05C1000 80831425
	v_add_f32_e64 v46, v46, 1.0                                // 000000004BC0: D101002E 0001E52E
	v_add_f32_e64 v47, v47, 1.0                                // 000000004BC8: D101002F 0001E52F
	v_add_f32_e64 v48, v48, 1.0                                // 000000004BD0: D1010030 0001E530
	v_add_f32_e64 v49, v49, 1.0                                // 000000004BD8: D1010031 0001E531
	v_rcp_f32_e32 v46, v46                                     // 000000004BE0: 7E5C452E
	v_rcp_f32_e32 v47, v47                                     // 000000004BE4: 7E5E452F
	v_rcp_f32_e32 v48, v48                                     // 000000004BE8: 7E604530
	v_rcp_f32_e32 v49, v49                                     // 000000004BEC: 7E624531
	v_mul_f32_e32 v136, v136, v46                              // 000000004BF0: 0B105D88
	v_mul_f32_e32 v137, v137, v47                              // 000000004BF4: 0B125F89
	v_mul_f32_e32 v138, v138, v48                              // 000000004BF8: 0B14618A
	v_mul_f32_e32 v139, v139, v49                              // 000000004BFC: 0B16638B
	v_mul_f32_e32 v136, v136, v72                              // 000000004C00: 0B109188
	v_mul_f32_e32 v137, v137, v73                              // 000000004C04: 0B129389
	v_mul_f32_e32 v138, v138, v74                              // 000000004C08: 0B14958A
	v_mul_f32_e32 v139, v139, v75                              // 000000004C0C: 0B16978B
	buffer_load_dwordx4 a[24:27], v38, s[12:15], 0 offen       // 000000004C10: E05C1000 80831826
	v_mul_f32_e32 v46, v140, v140                              // 000000004C18: 0A5D198C
	v_mul_f32_e32 v47, v141, v141                              // 000000004C1C: 0A5F1B8D
	v_mul_f32_e32 v48, v142, v142                              // 000000004C20: 0A611D8E
	v_mul_f32_e32 v49, v143, v143                              // 000000004C24: 0A631F8F
	v_fma_f32 v46, v46, s77, v1                                // 000000004C28: D1CB002E 04049B2E
	v_fma_f32 v47, v47, s77, v1                                // 000000004C30: D1CB002F 04049B2F
	v_fma_f32 v48, v48, s77, v1                                // 000000004C38: D1CB0030 04049B30
	v_fma_f32 v49, v49, s77, v1                                // 000000004C40: D1CB0031 04049B31
	v_mul_f32_e32 v46, v46, v140                               // 000000004C48: 0A5D192E
	v_mul_f32_e32 v47, v47, v141                               // 000000004C4C: 0A5F1B2F
	v_mul_f32_e32 v48, v48, v142                               // 000000004C50: 0A611D30
	v_mul_f32_e32 v49, v49, v143                               // 000000004C54: 0A631F31
	v_mul_f32_e64 v46, v46, s6                                 // 000000004C58: D105002E 00000D2E
	v_mul_f32_e64 v47, v47, s6                                 // 000000004C60: D105002F 00000D2F
	v_mul_f32_e64 v48, v48, s6                                 // 000000004C68: D1050030 00000D30
	v_mul_f32_e64 v49, v49, s6                                 // 000000004C70: D1050031 00000D31
	v_exp_f32_e32 v46, v46                                     // 000000004C78: 7E5C412E
	v_exp_f32_e32 v47, v47                                     // 000000004C7C: 7E5E412F
	v_exp_f32_e32 v48, v48                                     // 000000004C80: 7E604130
	v_exp_f32_e32 v49, v49                                     // 000000004C84: 7E624131
	buffer_load_dwordx4 a[28:31], v39, s[12:15], 0 offen       // 000000004C88: E05C1000 80831C27
	s_add_u32 s12, s78, s12                                    // 000000004C90: 800C0C4E
	s_addc_u32 s13, 0, s13                                     // 000000004C94: 820D0D80
	v_add_f32_e64 v46, v46, 1.0                                // 000000004C98: D101002E 0001E52E
	v_add_f32_e64 v47, v47, 1.0                                // 000000004CA0: D101002F 0001E52F
	v_add_f32_e64 v48, v48, 1.0                                // 000000004CA8: D1010030 0001E530
	v_add_f32_e64 v49, v49, 1.0                                // 000000004CB0: D1010031 0001E531
	v_rcp_f32_e32 v46, v46                                     // 000000004CB8: 7E5C452E
	v_rcp_f32_e32 v47, v47                                     // 000000004CBC: 7E5E452F
	v_rcp_f32_e32 v48, v48                                     // 000000004CC0: 7E604530
	v_rcp_f32_e32 v49, v49                                     // 000000004CC4: 7E624531
	v_mul_f32_e32 v140, v140, v46                              // 000000004CC8: 0B185D8C
	v_mul_f32_e32 v141, v141, v47                              // 000000004CCC: 0B1A5F8D
	v_mul_f32_e32 v142, v142, v48                              // 000000004CD0: 0B1C618E
	v_mul_f32_e32 v143, v143, v49                              // 000000004CD4: 0B1E638F
	v_mul_f32_e32 v140, v140, v76                              // 000000004CD8: 0B18998C
	v_mul_f32_e32 v141, v141, v77                              // 000000004CDC: 0B1A9B8D
	v_mul_f32_e32 v142, v142, v78                              // 000000004CE0: 0B1C9D8E
	v_mul_f32_e32 v143, v143, v79                              // 000000004CE4: 0B1E9F8F
	s_waitcnt vmcnt(12)                                        // 000000004CE8: BF8C0F7C
	buffer_load_dwordx4 a[32:35], v36, s[12:15], 0 offen       // 000000004CEC: E05C1000 80832024
	v_mul_f32_e32 v46, v144, v144                              // 000000004CF4: 0A5D2190
	v_mul_f32_e32 v47, v145, v145                              // 000000004CF8: 0A5F2391
	v_mul_f32_e32 v48, v146, v146                              // 000000004CFC: 0A612592
	v_mul_f32_e32 v49, v147, v147                              // 000000004D00: 0A632793
	v_fma_f32 v46, v46, s77, v1                                // 000000004D04: D1CB002E 04049B2E
	v_fma_f32 v47, v47, s77, v1                                // 000000004D0C: D1CB002F 04049B2F
	v_fma_f32 v48, v48, s77, v1                                // 000000004D14: D1CB0030 04049B30
	v_fma_f32 v49, v49, s77, v1                                // 000000004D1C: D1CB0031 04049B31
	v_mul_f32_e32 v46, v46, v144                               // 000000004D24: 0A5D212E
	v_mul_f32_e32 v47, v47, v145                               // 000000004D28: 0A5F232F
	v_mul_f32_e32 v48, v48, v146                               // 000000004D2C: 0A612530
	v_mul_f32_e32 v49, v49, v147                               // 000000004D30: 0A632731
	v_mul_f32_e64 v46, v46, s6                                 // 000000004D34: D105002E 00000D2E
	v_mul_f32_e64 v47, v47, s6                                 // 000000004D3C: D105002F 00000D2F
	v_mul_f32_e64 v48, v48, s6                                 // 000000004D44: D1050030 00000D30
	v_mul_f32_e64 v49, v49, s6                                 // 000000004D4C: D1050031 00000D31
	v_exp_f32_e32 v46, v46                                     // 000000004D54: 7E5C412E
	v_exp_f32_e32 v47, v47                                     // 000000004D58: 7E5E412F
	v_exp_f32_e32 v48, v48                                     // 000000004D5C: 7E604130
	v_exp_f32_e32 v49, v49                                     // 000000004D60: 7E624131
	buffer_load_dwordx4 a[36:39], v37, s[12:15], 0 offen       // 000000004D64: E05C1000 80832425
	v_add_f32_e64 v46, v46, 1.0                                // 000000004D6C: D101002E 0001E52E
	v_add_f32_e64 v47, v47, 1.0                                // 000000004D74: D101002F 0001E52F
	v_add_f32_e64 v48, v48, 1.0                                // 000000004D7C: D1010030 0001E530
	v_add_f32_e64 v49, v49, 1.0                                // 000000004D84: D1010031 0001E531
	v_rcp_f32_e32 v46, v46                                     // 000000004D8C: 7E5C452E
	v_rcp_f32_e32 v47, v47                                     // 000000004D90: 7E5E452F
	v_rcp_f32_e32 v48, v48                                     // 000000004D94: 7E604530
	v_rcp_f32_e32 v49, v49                                     // 000000004D98: 7E624531
	v_mul_f32_e32 v144, v144, v46                              // 000000004D9C: 0B205D90
	v_mul_f32_e32 v145, v145, v47                              // 000000004DA0: 0B225F91
	v_mul_f32_e32 v146, v146, v48                              // 000000004DA4: 0B246192
	v_mul_f32_e32 v147, v147, v49                              // 000000004DA8: 0B266393
	v_mul_f32_e32 v144, v144, v80                              // 000000004DAC: 0B20A190
	v_mul_f32_e32 v145, v145, v81                              // 000000004DB0: 0B22A391
	v_mul_f32_e32 v146, v146, v82                              // 000000004DB4: 0B24A592
	v_mul_f32_e32 v147, v147, v83                              // 000000004DB8: 0B26A793
	buffer_load_dwordx4 a[40:43], v38, s[12:15], 0 offen       // 000000004DBC: E05C1000 80832826
	v_mul_f32_e32 v46, v148, v148                              // 000000004DC4: 0A5D2994
	v_mul_f32_e32 v47, v149, v149                              // 000000004DC8: 0A5F2B95
	v_mul_f32_e32 v48, v150, v150                              // 000000004DCC: 0A612D96
	v_mul_f32_e32 v49, v151, v151                              // 000000004DD0: 0A632F97
	v_fma_f32 v46, v46, s77, v1                                // 000000004DD4: D1CB002E 04049B2E
	v_fma_f32 v47, v47, s77, v1                                // 000000004DDC: D1CB002F 04049B2F
	v_fma_f32 v48, v48, s77, v1                                // 000000004DE4: D1CB0030 04049B30
	v_fma_f32 v49, v49, s77, v1                                // 000000004DEC: D1CB0031 04049B31
	v_mul_f32_e32 v46, v46, v148                               // 000000004DF4: 0A5D292E
	v_mul_f32_e32 v47, v47, v149                               // 000000004DF8: 0A5F2B2F
	v_mul_f32_e32 v48, v48, v150                               // 000000004DFC: 0A612D30
	v_mul_f32_e32 v49, v49, v151                               // 000000004E00: 0A632F31
	v_mul_f32_e64 v46, v46, s6                                 // 000000004E04: D105002E 00000D2E
	v_mul_f32_e64 v47, v47, s6                                 // 000000004E0C: D105002F 00000D2F
	v_mul_f32_e64 v48, v48, s6                                 // 000000004E14: D1050030 00000D30
	v_mul_f32_e64 v49, v49, s6                                 // 000000004E1C: D1050031 00000D31
	v_exp_f32_e32 v46, v46                                     // 000000004E24: 7E5C412E
	v_exp_f32_e32 v47, v47                                     // 000000004E28: 7E5E412F
	v_exp_f32_e32 v48, v48                                     // 000000004E2C: 7E604130
	v_exp_f32_e32 v49, v49                                     // 000000004E30: 7E624131
	buffer_load_dwordx4 a[44:47], v39, s[12:15], 0 offen       // 000000004E34: E05C1000 80832C27
	s_add_u32 s12, s78, s12                                    // 000000004E3C: 800C0C4E
	s_addc_u32 s13, 0, s13                                     // 000000004E40: 820D0D80
	v_add_f32_e64 v46, v46, 1.0                                // 000000004E44: D101002E 0001E52E
	v_add_f32_e64 v47, v47, 1.0                                // 000000004E4C: D101002F 0001E52F
	v_add_f32_e64 v48, v48, 1.0                                // 000000004E54: D1010030 0001E530
	v_add_f32_e64 v49, v49, 1.0                                // 000000004E5C: D1010031 0001E531
	v_rcp_f32_e32 v46, v46                                     // 000000004E64: 7E5C452E
	v_rcp_f32_e32 v47, v47                                     // 000000004E68: 7E5E452F
	v_rcp_f32_e32 v48, v48                                     // 000000004E6C: 7E604530
	v_rcp_f32_e32 v49, v49                                     // 000000004E70: 7E624531
	v_mul_f32_e32 v148, v148, v46                              // 000000004E74: 0B285D94
	v_mul_f32_e32 v149, v149, v47                              // 000000004E78: 0B2A5F95
	v_mul_f32_e32 v150, v150, v48                              // 000000004E7C: 0B2C6196
	v_mul_f32_e32 v151, v151, v49                              // 000000004E80: 0B2E6397
	v_mul_f32_e32 v148, v148, v84                              // 000000004E84: 0B28A994
	v_mul_f32_e32 v149, v149, v85                              // 000000004E88: 0B2AAB95
	v_mul_f32_e32 v150, v150, v86                              // 000000004E8C: 0B2CAD96
	v_mul_f32_e32 v151, v151, v87                              // 000000004E90: 0B2EAF97
	s_waitcnt vmcnt(12)                                        // 000000004E94: BF8C0F7C
	buffer_load_dwordx4 a[48:51], v36, s[12:15], 0 offen       // 000000004E98: E05C1000 80833024
	v_mul_f32_e32 v46, v152, v152                              // 000000004EA0: 0A5D3198
	v_mul_f32_e32 v47, v153, v153                              // 000000004EA4: 0A5F3399
	v_mul_f32_e32 v48, v154, v154                              // 000000004EA8: 0A61359A
	v_mul_f32_e32 v49, v155, v155                              // 000000004EAC: 0A63379B
	v_fma_f32 v46, v46, s77, v1                                // 000000004EB0: D1CB002E 04049B2E
	v_fma_f32 v47, v47, s77, v1                                // 000000004EB8: D1CB002F 04049B2F
	v_fma_f32 v48, v48, s77, v1                                // 000000004EC0: D1CB0030 04049B30
	v_fma_f32 v49, v49, s77, v1                                // 000000004EC8: D1CB0031 04049B31
	v_mul_f32_e32 v46, v46, v152                               // 000000004ED0: 0A5D312E
	v_mul_f32_e32 v47, v47, v153                               // 000000004ED4: 0A5F332F
	v_mul_f32_e32 v48, v48, v154                               // 000000004ED8: 0A613530
	v_mul_f32_e32 v49, v49, v155                               // 000000004EDC: 0A633731
	v_mul_f32_e64 v46, v46, s6                                 // 000000004EE0: D105002E 00000D2E
	v_mul_f32_e64 v47, v47, s6                                 // 000000004EE8: D105002F 00000D2F
	v_mul_f32_e64 v48, v48, s6                                 // 000000004EF0: D1050030 00000D30
	v_mul_f32_e64 v49, v49, s6                                 // 000000004EF8: D1050031 00000D31
	v_exp_f32_e32 v46, v46                                     // 000000004F00: 7E5C412E
	v_exp_f32_e32 v47, v47                                     // 000000004F04: 7E5E412F
	v_exp_f32_e32 v48, v48                                     // 000000004F08: 7E604130
	v_exp_f32_e32 v49, v49                                     // 000000004F0C: 7E624131
	buffer_load_dwordx4 a[52:55], v37, s[12:15], 0 offen       // 000000004F10: E05C1000 80833425
	v_add_f32_e64 v46, v46, 1.0                                // 000000004F18: D101002E 0001E52E
	v_add_f32_e64 v47, v47, 1.0                                // 000000004F20: D101002F 0001E52F
	v_add_f32_e64 v48, v48, 1.0                                // 000000004F28: D1010030 0001E530
	v_add_f32_e64 v49, v49, 1.0                                // 000000004F30: D1010031 0001E531
	v_rcp_f32_e32 v46, v46                                     // 000000004F38: 7E5C452E
	v_rcp_f32_e32 v47, v47                                     // 000000004F3C: 7E5E452F
	v_rcp_f32_e32 v48, v48                                     // 000000004F40: 7E604530
	v_rcp_f32_e32 v49, v49                                     // 000000004F44: 7E624531
	v_mul_f32_e32 v152, v152, v46                              // 000000004F48: 0B305D98
	v_mul_f32_e32 v153, v153, v47                              // 000000004F4C: 0B325F99
	v_mul_f32_e32 v154, v154, v48                              // 000000004F50: 0B34619A
	v_mul_f32_e32 v155, v155, v49                              // 000000004F54: 0B36639B
	v_mul_f32_e32 v152, v152, v88                              // 000000004F58: 0B30B198
	v_mul_f32_e32 v153, v153, v89                              // 000000004F5C: 0B32B399
	v_mul_f32_e32 v154, v154, v90                              // 000000004F60: 0B34B59A
	v_mul_f32_e32 v155, v155, v91                              // 000000004F64: 0B36B79B
	buffer_load_dwordx4 a[56:59], v38, s[12:15], 0 offen       // 000000004F68: E05C1000 80833826
	v_mul_f32_e32 v46, v156, v156                              // 000000004F70: 0A5D399C
	v_mul_f32_e32 v47, v157, v157                              // 000000004F74: 0A5F3B9D
	v_mul_f32_e32 v48, v158, v158                              // 000000004F78: 0A613D9E
	v_mul_f32_e32 v49, v159, v159                              // 000000004F7C: 0A633F9F
	v_fma_f32 v46, v46, s77, v1                                // 000000004F80: D1CB002E 04049B2E
	v_fma_f32 v47, v47, s77, v1                                // 000000004F88: D1CB002F 04049B2F
	v_fma_f32 v48, v48, s77, v1                                // 000000004F90: D1CB0030 04049B30
	v_fma_f32 v49, v49, s77, v1                                // 000000004F98: D1CB0031 04049B31
	v_mul_f32_e32 v46, v46, v156                               // 000000004FA0: 0A5D392E
	v_mul_f32_e32 v47, v47, v157                               // 000000004FA4: 0A5F3B2F
	v_mul_f32_e32 v48, v48, v158                               // 000000004FA8: 0A613D30
	v_mul_f32_e32 v49, v49, v159                               // 000000004FAC: 0A633F31
	v_mul_f32_e64 v46, v46, s6                                 // 000000004FB0: D105002E 00000D2E
	v_mul_f32_e64 v47, v47, s6                                 // 000000004FB8: D105002F 00000D2F
	v_mul_f32_e64 v48, v48, s6                                 // 000000004FC0: D1050030 00000D30
	v_mul_f32_e64 v49, v49, s6                                 // 000000004FC8: D1050031 00000D31
	v_exp_f32_e32 v46, v46                                     // 000000004FD0: 7E5C412E
	v_exp_f32_e32 v47, v47                                     // 000000004FD4: 7E5E412F
	v_exp_f32_e32 v48, v48                                     // 000000004FD8: 7E604130
	v_exp_f32_e32 v49, v49                                     // 000000004FDC: 7E624131
	buffer_load_dwordx4 a[60:63], v39, s[12:15], 0 offen       // 000000004FE0: E05C1000 80833C27
	v_add_f32_e64 v46, v46, 1.0                                // 000000004FE8: D101002E 0001E52E
	v_add_f32_e64 v47, v47, 1.0                                // 000000004FF0: D101002F 0001E52F
	v_add_f32_e64 v48, v48, 1.0                                // 000000004FF8: D1010030 0001E530
	v_add_f32_e64 v49, v49, 1.0                                // 000000005000: D1010031 0001E531
	v_rcp_f32_e32 v46, v46                                     // 000000005008: 7E5C452E
	v_rcp_f32_e32 v47, v47                                     // 00000000500C: 7E5E452F
	v_rcp_f32_e32 v48, v48                                     // 000000005010: 7E604530
	v_rcp_f32_e32 v49, v49                                     // 000000005014: 7E624531
	v_mul_f32_e32 v156, v156, v46                              // 000000005018: 0B385D9C
	v_mul_f32_e32 v157, v157, v47                              // 00000000501C: 0B3A5F9D
	v_mul_f32_e32 v158, v158, v48                              // 000000005020: 0B3C619E
	v_mul_f32_e32 v159, v159, v49                              // 000000005024: 0B3E639F
	v_mul_f32_e32 v156, v156, v92                              // 000000005028: 0B38B99C
	v_mul_f32_e32 v157, v157, v93                              // 00000000502C: 0B3ABB9D
	v_mul_f32_e32 v158, v158, v94                              // 000000005030: 0B3CBD9E
	v_mul_f32_e32 v159, v159, v95                              // 000000005034: 0B3EBF9F
	v_mul_f32_dpp v128, v16, v128 row_newbcast:0 row_mask:0xf bank_mask:0xf// 000000005038: 0B0100FA FF015010
	v_mul_f32_dpp v129, v16, v129 row_newbcast:1 row_mask:0xf bank_mask:0xf// 000000005040: 0B0302FA FF015110
	v_mul_f32_dpp v130, v16, v130 row_newbcast:2 row_mask:0xf bank_mask:0xf// 000000005048: 0B0504FA FF015210
	v_mul_f32_dpp v131, v16, v131 row_newbcast:3 row_mask:0xf bank_mask:0xf// 000000005050: 0B0706FA FF015310
	v_mul_f32_dpp v132, v16, v132 row_newbcast:0 row_mask:0xf bank_mask:0xf// 000000005058: 0B0908FA FF015010
	v_mul_f32_dpp v133, v16, v133 row_newbcast:1 row_mask:0xf bank_mask:0xf// 000000005060: 0B0B0AFA FF015110
	v_mul_f32_dpp v134, v16, v134 row_newbcast:2 row_mask:0xf bank_mask:0xf// 000000005068: 0B0D0CFA FF015210
	v_mul_f32_dpp v135, v16, v135 row_newbcast:3 row_mask:0xf bank_mask:0xf// 000000005070: 0B0F0EFA FF015310
	v_mul_f32_dpp v136, v16, v136 row_newbcast:4 row_mask:0xf bank_mask:0xf// 000000005078: 0B1110FA FF015410
	v_mul_f32_dpp v137, v16, v137 row_newbcast:5 row_mask:0xf bank_mask:0xf// 000000005080: 0B1312FA FF015510
	v_mul_f32_dpp v138, v16, v138 row_newbcast:6 row_mask:0xf bank_mask:0xf// 000000005088: 0B1514FA FF015610
	v_mul_f32_dpp v139, v16, v139 row_newbcast:7 row_mask:0xf bank_mask:0xf// 000000005090: 0B1716FA FF015710
	v_mul_f32_dpp v140, v16, v140 row_newbcast:4 row_mask:0xf bank_mask:0xf// 000000005098: 0B1918FA FF015410
	v_mul_f32_dpp v141, v16, v141 row_newbcast:5 row_mask:0xf bank_mask:0xf// 0000000050A0: 0B1B1AFA FF015510
	v_mul_f32_dpp v142, v16, v142 row_newbcast:6 row_mask:0xf bank_mask:0xf// 0000000050A8: 0B1D1CFA FF015610
	v_mul_f32_dpp v143, v16, v143 row_newbcast:7 row_mask:0xf bank_mask:0xf// 0000000050B0: 0B1F1EFA FF015710
	v_mul_f32_dpp v144, v16, v144 row_newbcast:8 row_mask:0xf bank_mask:0xf// 0000000050B8: 0B2120FA FF015810
	v_mul_f32_dpp v145, v16, v145 row_newbcast:9 row_mask:0xf bank_mask:0xf// 0000000050C0: 0B2322FA FF015910
	v_mul_f32_dpp v146, v16, v146 row_newbcast:10 row_mask:0xf bank_mask:0xf// 0000000050C8: 0B2524FA FF015A10
	v_mul_f32_dpp v147, v16, v147 row_newbcast:11 row_mask:0xf bank_mask:0xf// 0000000050D0: 0B2726FA FF015B10
	v_mul_f32_dpp v148, v16, v148 row_newbcast:8 row_mask:0xf bank_mask:0xf// 0000000050D8: 0B2928FA FF015810
	v_mul_f32_dpp v149, v16, v149 row_newbcast:9 row_mask:0xf bank_mask:0xf// 0000000050E0: 0B2B2AFA FF015910
	v_mul_f32_dpp v150, v16, v150 row_newbcast:10 row_mask:0xf bank_mask:0xf// 0000000050E8: 0B2D2CFA FF015A10
	v_mul_f32_dpp v151, v16, v151 row_newbcast:11 row_mask:0xf bank_mask:0xf// 0000000050F0: 0B2F2EFA FF015B10
	v_mul_f32_dpp v152, v16, v152 row_newbcast:12 row_mask:0xf bank_mask:0xf// 0000000050F8: 0B3130FA FF015C10
	v_mul_f32_dpp v153, v16, v153 row_newbcast:13 row_mask:0xf bank_mask:0xf// 000000005100: 0B3332FA FF015D10
	v_mul_f32_dpp v154, v16, v154 row_newbcast:14 row_mask:0xf bank_mask:0xf// 000000005108: 0B3534FA FF015E10
	v_mul_f32_dpp v155, v16, v155 row_newbcast:15 row_mask:0xf bank_mask:0xf// 000000005110: 0B3736FA FF015F10
	v_mul_f32_dpp v156, v16, v156 row_newbcast:12 row_mask:0xf bank_mask:0xf// 000000005118: 0B3938FA FF015C10
	v_mul_f32_dpp v157, v16, v157 row_newbcast:13 row_mask:0xf bank_mask:0xf// 000000005120: 0B3B3AFA FF015D10
	v_mul_f32_dpp v158, v16, v158 row_newbcast:14 row_mask:0xf bank_mask:0xf// 000000005128: 0B3D3CFA FF015E10
	v_mul_f32_dpp v159, v16, v159 row_newbcast:15 row_mask:0xf bank_mask:0xf// 000000005130: 0B3F3EFA FF015F10
	v_lshlrev_b32_e32 v46, 2, v0                               // 000000005138: 245C0082
	s_mul_i32 s60, s82, s71                                    // 00000000513C: 923C4752
	v_add_u32_e64 v80, v46, s60                                // 000000005140: D1340050 0000792E
	v_mov_b32_e32 v81, 0                                       // 000000005148: 7EA20280
	s_mul_i32 s60, s83, s71                                    // 00000000514C: 923C4753
	v_add_u32_e64 v82, v46, s60                                // 000000005150: D1340052 0000792E
	v_mov_b32_e32 v83, 0                                       // 000000005158: 7EA60280
	s_mul_i32 s60, s84, s71                                    // 00000000515C: 923C4754
	v_add_u32_e64 v84, v46, s60                                // 000000005160: D1340054 0000792E
	v_mov_b32_e32 v85, 0                                       // 000000005168: 7EAA0280
	s_mul_i32 s60, s85, s71                                    // 00000000516C: 923C4755
	v_add_u32_e64 v86, v46, s60                                // 000000005170: D1340056 0000792E
	v_mov_b32_e32 v87, 0                                       // 000000005178: 7EAE0280
	s_mul_i32 s60, s86, s71                                    // 00000000517C: 923C4756
	v_add_u32_e64 v88, v46, s60                                // 000000005180: D1340058 0000792E
	v_mov_b32_e32 v89, 0                                       // 000000005188: 7EB20280
	s_mul_i32 s60, s87, s71                                    // 00000000518C: 923C4757
	v_add_u32_e64 v90, v46, s60                                // 000000005190: D134005A 0000792E
	v_mov_b32_e32 v91, 0                                       // 000000005198: 7EB60280
	s_mul_i32 s60, s88, s71                                    // 00000000519C: 923C4758
	v_add_u32_e64 v92, v46, s60                                // 0000000051A0: D134005C 0000792E
	v_mov_b32_e32 v93, 0                                       // 0000000051A8: 7EBA0280
	s_mul_i32 s60, s89, s71                                    // 0000000051AC: 923C4759
	v_add_u32_e64 v94, v46, s60                                // 0000000051B0: D134005E 0000792E
	v_mov_b32_e32 v95, 0                                       // 0000000051B8: 7EBE0280
	buffer_load_dword v11, v5, s[16:19], 0 offen               // 0000000051BC: E0501000 80040B05
	v_mov_b32_e32 v20, 0x358637bd                              // 0000000051C4: 7E2802FF 358637BD
	v_mov_b32_e32 v21, 0x358637bd                              // 0000000051CC: 7E2A02FF 358637BD
	v_max3_f32 v20, |v128|, |v129|, v20                        // 0000000051D4: D1D30314 04530380
	v_max3_f32 v20, |v130|, |v131|, v20                        // 0000000051DC: D1D30314 04530782
	v_max3_f32 v21, |v132|, |v133|, v21                        // 0000000051E4: D1D30315 04570B84
	v_max3_f32 v21, |v134|, |v135|, v21                        // 0000000051EC: D1D30315 04570F86
	v_max3_f32 v20, |v136|, |v137|, v20                        // 0000000051F4: D1D30314 04531388
	v_max3_f32 v20, |v138|, |v139|, v20                        // 0000000051FC: D1D30314 0453178A
	v_max3_f32 v21, |v140|, |v141|, v21                        // 000000005204: D1D30315 04571B8C
	v_max3_f32 v21, |v142|, |v143|, v21                        // 00000000520C: D1D30315 04571F8E
	v_max3_f32 v20, |v144|, |v145|, v20                        // 000000005214: D1D30314 04532390
	v_max3_f32 v20, |v146|, |v147|, v20                        // 00000000521C: D1D30314 04532792
	v_max3_f32 v21, |v148|, |v149|, v21                        // 000000005224: D1D30315 04572B94
	v_max3_f32 v21, |v150|, |v151|, v21                        // 00000000522C: D1D30315 04572F96
	v_max3_f32 v20, |v152|, |v153|, v20                        // 000000005234: D1D30314 04533398
	v_max3_f32 v20, |v154|, |v155|, v20                        // 00000000523C: D1D30314 0453379A
	v_max3_f32 v21, |v156|, |v157|, v21                        // 000000005244: D1D30315 04573B9C
	v_max3_f32 v21, |v158|, |v159|, v21                        // 00000000524C: D1D30315 04573F9E
	v_lshlrev_b32_e32 v46, 3, v0                               // 000000005254: 245C0083
	s_mul_i32 s60, 0x200, s7                                   // 000000005258: 923C07FF 00000200
	v_add_u32_e32 v46, s60, v46                                // 000000005260: 685C5C3C
	ds_write_b64 v46, v[20:21] offset:16640                    // 000000005264: D89A4100 0000142E
	s_waitcnt lgkmcnt(0)                                       // 00000000526C: BF8CC07F
	s_barrier                                                  // 000000005270: BF8A0000
	v_and_b32_e32 v46, 15, v0                                  // 000000005274: 265C008F
	v_lshlrev_b32_e32 v46, 3, v46                              // 000000005278: 245C5C83
	ds_read_b64 v[96:97], v46 offset:16640                     // 00000000527C: D8EC4100 6000002E
	ds_read_b64 v[98:99], v46 offset:16768                     // 000000005284: D8EC4180 6200002E
	ds_read_b64 v[100:101], v46 offset:16896                   // 00000000528C: D8EC4200 6400002E
	ds_read_b64 v[102:103], v46 offset:17024                   // 000000005294: D8EC4280 6600002E
	ds_read_b64 v[104:105], v46 offset:17152                   // 00000000529C: D8EC4300 6800002E
	ds_read_b64 v[106:107], v46 offset:17280                   // 0000000052A4: D8EC4380 6A00002E
	ds_read_b64 v[108:109], v46 offset:17408                   // 0000000052AC: D8EC4400 6C00002E
	ds_read_b64 v[110:111], v46 offset:17536                   // 0000000052B4: D8EC4480 6E00002E
	ds_read_b64 v[112:113], v46 offset:17664                   // 0000000052BC: D8EC4500 7000002E
	ds_read_b64 v[114:115], v46 offset:17792                   // 0000000052C4: D8EC4580 7200002E
	ds_read_b64 v[116:117], v46 offset:17920                   // 0000000052CC: D8EC4600 7400002E
	ds_read_b64 v[118:119], v46 offset:18048                   // 0000000052D4: D8EC4680 7600002E
	ds_read_b64 v[120:121], v46 offset:18176                   // 0000000052DC: D8EC4700 7800002E
	ds_read_b64 v[122:123], v46 offset:18304                   // 0000000052E4: D8EC4780 7A00002E
	ds_read_b64 v[124:125], v46 offset:18432                   // 0000000052EC: D8EC4800 7C00002E
	ds_read_b64 v[126:127], v46 offset:18560                   // 0000000052F4: D8EC4880 7E00002E
	s_waitcnt lgkmcnt(0)                                       // 0000000052FC: BF8CC07F
	v_max3_f32 v20, |v96|, |v98|, v20                          // 000000005300: D1D30314 0452C560
	v_max3_f32 v21, |v97|, |v99|, v21                          // 000000005308: D1D30315 0456C761
	v_max3_f32 v20, |v100|, |v102|, v20                        // 000000005310: D1D30314 0452CD64
	v_max3_f32 v21, |v101|, |v103|, v21                        // 000000005318: D1D30315 0456CF65
	v_max3_f32 v20, |v104|, |v106|, v20                        // 000000005320: D1D30314 0452D568
	v_max3_f32 v21, |v105|, |v107|, v21                        // 000000005328: D1D30315 0456D769
	v_max3_f32 v20, |v108|, |v110|, v20                        // 000000005330: D1D30314 0452DD6C
	v_max3_f32 v21, |v109|, |v111|, v21                        // 000000005338: D1D30315 0456DF6D
	v_max3_f32 v20, |v112|, |v114|, v20                        // 000000005340: D1D30314 0452E570
	v_max3_f32 v21, |v113|, |v115|, v21                        // 000000005348: D1D30315 0456E771
	v_max3_f32 v20, |v116|, |v118|, v20                        // 000000005350: D1D30314 0452ED74
	v_max3_f32 v21, |v117|, |v119|, v21                        // 000000005358: D1D30315 0456EF75
	v_max3_f32 v20, |v120|, |v122|, v20                        // 000000005360: D1D30314 0452F578
	v_max3_f32 v21, |v121|, |v123|, v21                        // 000000005368: D1D30315 0456F779
	v_max3_f32 v20, |v124|, |v126|, v20                        // 000000005370: D1D30314 0452FD7C
	v_max3_f32 v21, |v125|, |v127|, v21                        // 000000005378: D1D30315 0456FF7D
	v_rcp_f32_e32 v20, v20                                     // 000000005380: 7E284514
	v_rcp_f32_e32 v21, v21                                     // 000000005384: 7E2A4515
	v_mul_f32_e32 v20, 0x42fe0000, v20                         // 000000005388: 0A2828FF 42FE0000
	v_mul_f32_e32 v21, 0x42fe0000, v21                         // 000000005390: 0A2A2AFF 42FE0000
	v_mul_f32_e32 v128, v20, v128                              // 000000005398: 0B010114
	v_mul_f32_e32 v129, v20, v129                              // 00000000539C: 0B030314
	v_mul_f32_e32 v130, v20, v130                              // 0000000053A0: 0B050514
	v_mul_f32_e32 v131, v20, v131                              // 0000000053A4: 0B070714
	v_cvt_i32_f32_e32 v128, v128                               // 0000000053A8: 7F001180
	v_cvt_i32_f32_e32 v129, v129                               // 0000000053AC: 7F021181
	v_cvt_i32_f32_e32 v130, v130                               // 0000000053B0: 7F041182
	v_cvt_i32_f32_e32 v131, v131                               // 0000000053B4: 7F061183
	v_perm_b32 v128, v129, v128, s53                           // 0000000053B8: D1ED0080 00D70181
	v_perm_b32 v128, v130, v128, s54                           // 0000000053C0: D1ED0080 00DB0182
	v_perm_b32 v128, v131, v128, s55                           // 0000000053C8: D1ED0080 00DF0183
	v_mul_f32_e32 v132, v21, v132                              // 0000000053D0: 0B090915
	v_mul_f32_e32 v133, v21, v133                              // 0000000053D4: 0B0B0B15
	v_mul_f32_e32 v134, v21, v134                              // 0000000053D8: 0B0D0D15
	v_mul_f32_e32 v135, v21, v135                              // 0000000053DC: 0B0F0F15
	v_cvt_i32_f32_e32 v132, v132                               // 0000000053E0: 7F081184
	v_cvt_i32_f32_e32 v133, v133                               // 0000000053E4: 7F0A1185
	v_cvt_i32_f32_e32 v134, v134                               // 0000000053E8: 7F0C1186
	v_cvt_i32_f32_e32 v135, v135                               // 0000000053EC: 7F0E1187
	v_perm_b32 v129, v133, v132, s53                           // 0000000053F0: D1ED0081 00D70985
	v_perm_b32 v129, v134, v129, s54                           // 0000000053F8: D1ED0081 00DB0386
	v_perm_b32 v129, v135, v129, s55                           // 000000005400: D1ED0081 00DF0387
	v_mul_f32_e32 v136, v20, v136                              // 000000005408: 0B111114
	v_mul_f32_e32 v137, v20, v137                              // 00000000540C: 0B131314
	v_mul_f32_e32 v138, v20, v138                              // 000000005410: 0B151514
	v_mul_f32_e32 v139, v20, v139                              // 000000005414: 0B171714
	v_cvt_i32_f32_e32 v136, v136                               // 000000005418: 7F101188
	v_cvt_i32_f32_e32 v137, v137                               // 00000000541C: 7F121189
	v_cvt_i32_f32_e32 v138, v138                               // 000000005420: 7F14118A
	v_cvt_i32_f32_e32 v139, v139                               // 000000005424: 7F16118B
	v_perm_b32 v130, v137, v136, s53                           // 000000005428: D1ED0082 00D71189
	v_perm_b32 v130, v138, v130, s54                           // 000000005430: D1ED0082 00DB058A
	v_perm_b32 v130, v139, v130, s55                           // 000000005438: D1ED0082 00DF058B
	v_mul_f32_e32 v140, v21, v140                              // 000000005440: 0B191915
	v_mul_f32_e32 v141, v21, v141                              // 000000005444: 0B1B1B15
	v_mul_f32_e32 v142, v21, v142                              // 000000005448: 0B1D1D15
	v_mul_f32_e32 v143, v21, v143                              // 00000000544C: 0B1F1F15
	v_cvt_i32_f32_e32 v140, v140                               // 000000005450: 7F18118C
	v_cvt_i32_f32_e32 v141, v141                               // 000000005454: 7F1A118D
	v_cvt_i32_f32_e32 v142, v142                               // 000000005458: 7F1C118E
	v_cvt_i32_f32_e32 v143, v143                               // 00000000545C: 7F1E118F
	v_perm_b32 v131, v141, v140, s53                           // 000000005460: D1ED0083 00D7198D
	v_perm_b32 v131, v142, v131, s54                           // 000000005468: D1ED0083 00DB078E
	v_perm_b32 v131, v143, v131, s55                           // 000000005470: D1ED0083 00DF078F
	v_mul_f32_e32 v144, v20, v144                              // 000000005478: 0B212114
	v_mul_f32_e32 v145, v20, v145                              // 00000000547C: 0B232314
	v_mul_f32_e32 v146, v20, v146                              // 000000005480: 0B252514
	v_mul_f32_e32 v147, v20, v147                              // 000000005484: 0B272714
	v_cvt_i32_f32_e32 v144, v144                               // 000000005488: 7F201190
	v_cvt_i32_f32_e32 v145, v145                               // 00000000548C: 7F221191
	v_cvt_i32_f32_e32 v146, v146                               // 000000005490: 7F241192
	v_cvt_i32_f32_e32 v147, v147                               // 000000005494: 7F261193
	v_perm_b32 v132, v145, v144, s53                           // 000000005498: D1ED0084 00D72191
	v_perm_b32 v132, v146, v132, s54                           // 0000000054A0: D1ED0084 00DB0992
	v_perm_b32 v132, v147, v132, s55                           // 0000000054A8: D1ED0084 00DF0993
	v_mul_f32_e32 v148, v21, v148                              // 0000000054B0: 0B292915
	v_mul_f32_e32 v149, v21, v149                              // 0000000054B4: 0B2B2B15
	v_mul_f32_e32 v150, v21, v150                              // 0000000054B8: 0B2D2D15
	v_mul_f32_e32 v151, v21, v151                              // 0000000054BC: 0B2F2F15
	v_cvt_i32_f32_e32 v148, v148                               // 0000000054C0: 7F281194
	v_cvt_i32_f32_e32 v149, v149                               // 0000000054C4: 7F2A1195
	v_cvt_i32_f32_e32 v150, v150                               // 0000000054C8: 7F2C1196
	v_cvt_i32_f32_e32 v151, v151                               // 0000000054CC: 7F2E1197
	v_perm_b32 v133, v149, v148, s53                           // 0000000054D0: D1ED0085 00D72995
	v_perm_b32 v133, v150, v133, s54                           // 0000000054D8: D1ED0085 00DB0B96
	v_perm_b32 v133, v151, v133, s55                           // 0000000054E0: D1ED0085 00DF0B97
	v_mul_f32_e32 v152, v20, v152                              // 0000000054E8: 0B313114
	v_mul_f32_e32 v153, v20, v153                              // 0000000054EC: 0B333314
	v_mul_f32_e32 v154, v20, v154                              // 0000000054F0: 0B353514
	v_mul_f32_e32 v155, v20, v155                              // 0000000054F4: 0B373714
	v_cvt_i32_f32_e32 v152, v152                               // 0000000054F8: 7F301198
	v_cvt_i32_f32_e32 v153, v153                               // 0000000054FC: 7F321199
	v_cvt_i32_f32_e32 v154, v154                               // 000000005500: 7F34119A
	v_cvt_i32_f32_e32 v155, v155                               // 000000005504: 7F36119B
	v_perm_b32 v134, v153, v152, s53                           // 000000005508: D1ED0086 00D73199
	v_perm_b32 v134, v154, v134, s54                           // 000000005510: D1ED0086 00DB0D9A
	v_perm_b32 v134, v155, v134, s55                           // 000000005518: D1ED0086 00DF0D9B
	v_mul_f32_e32 v156, v21, v156                              // 000000005520: 0B393915
	v_mul_f32_e32 v157, v21, v157                              // 000000005524: 0B3B3B15
	v_mul_f32_e32 v158, v21, v158                              // 000000005528: 0B3D3D15
	v_mul_f32_e32 v159, v21, v159                              // 00000000552C: 0B3F3F15
	v_cvt_i32_f32_e32 v156, v156                               // 000000005530: 7F38119C
	v_cvt_i32_f32_e32 v157, v157                               // 000000005534: 7F3A119D
	v_cvt_i32_f32_e32 v158, v158                               // 000000005538: 7F3C119E
	v_cvt_i32_f32_e32 v159, v159                               // 00000000553C: 7F3E119F
	v_perm_b32 v135, v157, v156, s53                           // 000000005540: D1ED0087 00D7399D
	v_perm_b32 v135, v158, v135, s54                           // 000000005548: D1ED0087 00DB0F9E
	v_perm_b32 v135, v159, v135, s55                           // 000000005550: D1ED0087 00DF0F9F
	v_rcp_f32_e32 v22, v20                                     // 000000005558: 7E2C4514
	v_rcp_f32_e32 v23, v21                                     // 00000000555C: 7E2E4515
	v_lshrrev_b32_e32 v46, 5, v0                               // 000000005560: 205C0085
	v_lshlrev_b32_e32 v47, 5, v46                              // 000000005564: 245E5C85
	v_and_b32_e32 v46, 31, v0                                  // 000000005568: 265C009F
	v_lshrrev_b32_e32 v48, 4, v46                              // 00000000556C: 20605C84
	v_add_u32_e32 v47, v48, v47                                // 000000005570: 685E5F30
	v_and_b32_e32 v46, 15, v0                                  // 000000005574: 265C008F
	v_lshlrev_b32_e32 v46, 1, v46                              // 000000005578: 245C5C81
	v_add_u32_e32 v47, v46, v47                                // 00000000557C: 685E5F2E
	v_lshlrev_b32_e32 v46, 2, v47                              // 000000005580: 245C5E82
	s_mul_i32 s60, 0x100, s7                                   // 000000005584: 923C07FF 00000100
	v_add_u32_e64 v46, v46, s60                                // 00000000558C: D134002E 0000792E
	ds_write_b32 v46, v128 offset:18688                        // 000000005594: D81A4900 0000802E
	ds_write_b32 v46, v129 offset:22784                        // 00000000559C: D81A5900 0000812E
	ds_write_b32 v46, v130 offset:19712                        // 0000000055A4: D81A4D00 0000822E
	ds_write_b32 v46, v131 offset:23808                        // 0000000055AC: D81A5D00 0000832E
	ds_write_b32 v46, v132 offset:20736                        // 0000000055B4: D81A5100 0000842E
	ds_write_b32 v46, v133 offset:24832                        // 0000000055BC: D81A6100 0000852E
	ds_write_b32 v46, v134 offset:21760                        // 0000000055C4: D81A5500 0000862E
	ds_write_b32 v46, v135 offset:25856                        // 0000000055CC: D81A6500 0000872E
	s_waitcnt lgkmcnt(0)                                       // 0000000055D4: BF8CC07F
	s_barrier                                                  // 0000000055D8: BF8A0000
	v_lshrrev_b32_e32 v46, 4, v0                               // 0000000055DC: 205C0084
	v_lshlrev_b32_e32 v47, 6, v46                              // 0000000055E0: 245E5C86
	v_and_b32_e32 v46, 15, v0                                  // 0000000055E4: 265C008F
	v_lshlrev_b32_e32 v46, 1, v46                              // 0000000055E8: 245C5C81
	v_add_u32_e32 v47, v46, v47                                // 0000000055EC: 685E5F2E
	v_lshlrev_b32_e32 v46, 2, v47                              // 0000000055F0: 245C5E82
	ds_read_b64 v[128:129], v46 offset:18688                   // 0000000055F4: D8EC4900 8000002E
	ds_read_b64 v[130:131], v46 offset:18816                   // 0000000055FC: D8EC4980 8200002E
	ds_read_b64 v[132:133], v46 offset:19712                   // 000000005604: D8EC4D00 8400002E
	ds_read_b64 v[134:135], v46 offset:19840                   // 00000000560C: D8EC4D80 8600002E
	ds_read_b64 v[136:137], v46 offset:20736                   // 000000005614: D8EC5100 8800002E
	ds_read_b64 v[138:139], v46 offset:20864                   // 00000000561C: D8EC5180 8A00002E
	ds_read_b64 v[140:141], v46 offset:21760                   // 000000005624: D8EC5500 8C00002E
	ds_read_b64 v[142:143], v46 offset:21888                   // 00000000562C: D8EC5580 8E00002E
	ds_read_b64 v[144:145], v46 offset:22784                   // 000000005634: D8EC5900 9000002E
	ds_read_b64 v[146:147], v46 offset:22912                   // 00000000563C: D8EC5980 9200002E
	ds_read_b64 v[148:149], v46 offset:23808                   // 000000005644: D8EC5D00 9400002E
	ds_read_b64 v[150:151], v46 offset:23936                   // 00000000564C: D8EC5D80 9600002E
	ds_read_b64 v[152:153], v46 offset:24832                   // 000000005654: D8EC6100 9800002E
	ds_read_b64 v[154:155], v46 offset:24960                   // 00000000565C: D8EC6180 9A00002E
	ds_read_b64 v[156:157], v46 offset:25856                   // 000000005664: D8EC6500 9C00002E
	ds_read_b64 v[158:159], v46 offset:25984                   // 00000000566C: D8EC6580 9E00002E
	s_add_u32 s12, s56, s12                                    // 000000005674: 800C0C38
	s_addc_u32 s13, 0, s13                                     // 000000005678: 820D0D80
	s_add_u32 s16, s79, s16                                    // 00000000567C: 8010104F
	s_addc_u32 s17, 0, s17                                     // 000000005680: 82111180
	s_mov_b32 s80, 0                                           // 000000005684: BED00080
	s_waitcnt vmcnt(0) expcnt(0) lgkmcnt(0)                    // 000000005688: BF8C0000

000000000000568c <label_0A23>:
	s_waitcnt vmcnt(29)                                        // 00000000568C: BF8C4F7D
	s_barrier                                                  // 000000005690: BF8A0000
	v_mfma_i32_16x16x32_i8 v[160:163], a[0:1], v[128:129], 0   // 000000005694: D3D700A0 0A030100
	v_mfma_i32_16x16x32_i8 v[160:163], a[2:3], v[130:131], v[160:163]// 00000000569C: D3D700A0 0E830502
	buffer_load_dwordx4 a[64:67], v36, s[12:15], 0 offen       // 0000000056A4: E05C1000 80834024
	v_mfma_i32_16x16x32_i8 v[164:167], a[0:1], v[144:145], 0   // 0000000056AC: D3D700A4 0A032100
	v_mfma_i32_16x16x32_i8 v[164:167], a[2:3], v[146:147], v[164:167]// 0000000056B4: D3D700A4 0E932502
	v_mfma_i32_16x16x32_i8 v[168:171], a[4:5], v[128:129], 0   // 0000000056BC: D3D700A8 0A030104
	v_mfma_i32_16x16x32_i8 v[168:171], a[6:7], v[130:131], v[168:171]// 0000000056C4: D3D700A8 0EA30506
	buffer_load_dwordx4 a[68:71], v37, s[12:15], 0 offen       // 0000000056CC: E05C1000 80834425
	v_mfma_i32_16x16x32_i8 v[172:175], a[4:5], v[144:145], 0   // 0000000056D4: D3D700AC 0A032104
	v_mfma_i32_16x16x32_i8 v[172:175], a[6:7], v[146:147], v[172:175]// 0000000056DC: D3D700AC 0EB32506
	v_mfma_i32_16x16x32_i8 v[176:179], a[8:9], v[128:129], 0   // 0000000056E4: D3D700B0 0A030108
	v_mfma_i32_16x16x32_i8 v[176:179], a[10:11], v[130:131], v[176:179]// 0000000056EC: D3D700B0 0EC3050A
	buffer_load_dwordx4 a[72:75], v38, s[12:15], 0 offen       // 0000000056F4: E05C1000 80834826
	v_mfma_i32_16x16x32_i8 v[180:183], a[8:9], v[144:145], 0   // 0000000056FC: D3D700B4 0A032108
	v_mfma_i32_16x16x32_i8 v[180:183], a[10:11], v[146:147], v[180:183]// 000000005704: D3D700B4 0ED3250A
	v_mfma_i32_16x16x32_i8 v[184:187], a[12:13], v[128:129], 0 // 00000000570C: D3D700B8 0A03010C
	v_mfma_i32_16x16x32_i8 v[184:187], a[14:15], v[130:131], v[184:187]// 000000005714: D3D700B8 0EE3050E
	buffer_load_dwordx4 a[76:79], v39, s[12:15], 0 offen       // 00000000571C: E05C1000 80834C27
	s_add_u32 s12, s78, s12                                    // 000000005724: 800C0C4E
	s_addc_u32 s13, 0, s13                                     // 000000005728: 820D0D80
	v_mfma_i32_16x16x32_i8 v[188:191], a[12:13], v[144:145], 0 // 00000000572C: D3D700BC 0A03210C
	v_mfma_i32_16x16x32_i8 v[188:191], a[14:15], v[146:147], v[188:191]// 000000005734: D3D700BC 0EF3250E
	s_waitcnt vmcnt(29)                                        // 00000000573C: BF8C4F7D
	v_mfma_i32_16x16x32_i8 v[160:163], a[16:17], v[132:133], v[160:163]// 000000005740: D3D700A0 0E830910
	v_mfma_i32_16x16x32_i8 v[160:163], a[18:19], v[134:135], v[160:163]// 000000005748: D3D700A0 0E830D12
	buffer_load_dwordx4 a[80:83], v36, s[12:15], 0 offen       // 000000005750: E05C1000 80835024
	v_mfma_i32_16x16x32_i8 v[164:167], a[16:17], v[148:149], v[164:167]// 000000005758: D3D700A4 0E932910
	v_mfma_i32_16x16x32_i8 v[164:167], a[18:19], v[150:151], v[164:167]// 000000005760: D3D700A4 0E932D12
	v_mfma_i32_16x16x32_i8 v[168:171], a[20:21], v[132:133], v[168:171]// 000000005768: D3D700A8 0EA30914
	v_mfma_i32_16x16x32_i8 v[168:171], a[22:23], v[134:135], v[168:171]// 000000005770: D3D700A8 0EA30D16
	buffer_load_dwordx4 a[84:87], v37, s[12:15], 0 offen       // 000000005778: E05C1000 80835425
	v_mfma_i32_16x16x32_i8 v[172:175], a[20:21], v[148:149], v[172:175]// 000000005780: D3D700AC 0EB32914
	v_mfma_i32_16x16x32_i8 v[172:175], a[22:23], v[150:151], v[172:175]// 000000005788: D3D700AC 0EB32D16
	v_mfma_i32_16x16x32_i8 v[176:179], a[24:25], v[132:133], v[176:179]// 000000005790: D3D700B0 0EC30918
	v_mfma_i32_16x16x32_i8 v[176:179], a[26:27], v[134:135], v[176:179]// 000000005798: D3D700B0 0EC30D1A
	buffer_load_dwordx4 a[88:91], v38, s[12:15], 0 offen       // 0000000057A0: E05C1000 80835826
	v_mfma_i32_16x16x32_i8 v[180:183], a[24:25], v[148:149], v[180:183]// 0000000057A8: D3D700B4 0ED32918
	v_mfma_i32_16x16x32_i8 v[180:183], a[26:27], v[150:151], v[180:183]// 0000000057B0: D3D700B4 0ED32D1A
	v_mfma_i32_16x16x32_i8 v[184:187], a[28:29], v[132:133], v[184:187]// 0000000057B8: D3D700B8 0EE3091C
	v_mfma_i32_16x16x32_i8 v[184:187], a[30:31], v[134:135], v[184:187]// 0000000057C0: D3D700B8 0EE30D1E
	buffer_load_dwordx4 a[92:95], v39, s[12:15], 0 offen       // 0000000057C8: E05C1000 80835C27
	s_add_u32 s12, s78, s12                                    // 0000000057D0: 800C0C4E
	s_addc_u32 s13, 0, s13                                     // 0000000057D4: 820D0D80
	v_mfma_i32_16x16x32_i8 v[188:191], a[28:29], v[148:149], v[188:191]// 0000000057D8: D3D700BC 0EF3291C
	v_mfma_i32_16x16x32_i8 v[188:191], a[30:31], v[150:151], v[188:191]// 0000000057E0: D3D700BC 0EF32D1E
	s_waitcnt vmcnt(29)                                        // 0000000057E8: BF8C4F7D
	v_mfma_i32_16x16x32_i8 v[160:163], a[32:33], v[136:137], v[160:163]// 0000000057EC: D3D700A0 0E831120
	v_mfma_i32_16x16x32_i8 v[160:163], a[34:35], v[138:139], v[160:163]// 0000000057F4: D3D700A0 0E831522
	buffer_load_dwordx4 a[96:99], v36, s[12:15], 0 offen       // 0000000057FC: E05C1000 80836024
	v_mfma_i32_16x16x32_i8 v[164:167], a[32:33], v[152:153], v[164:167]// 000000005804: D3D700A4 0E933120
	v_mfma_i32_16x16x32_i8 v[164:167], a[34:35], v[154:155], v[164:167]// 00000000580C: D3D700A4 0E933522
	v_mfma_i32_16x16x32_i8 v[168:171], a[36:37], v[136:137], v[168:171]// 000000005814: D3D700A8 0EA31124
	v_mfma_i32_16x16x32_i8 v[168:171], a[38:39], v[138:139], v[168:171]// 00000000581C: D3D700A8 0EA31526
	buffer_load_dwordx4 a[100:103], v37, s[12:15], 0 offen     // 000000005824: E05C1000 80836425
	v_mfma_i32_16x16x32_i8 v[172:175], a[36:37], v[152:153], v[172:175]// 00000000582C: D3D700AC 0EB33124
	v_mfma_i32_16x16x32_i8 v[172:175], a[38:39], v[154:155], v[172:175]// 000000005834: D3D700AC 0EB33526
	v_mfma_i32_16x16x32_i8 v[176:179], a[40:41], v[136:137], v[176:179]// 00000000583C: D3D700B0 0EC31128
	v_mfma_i32_16x16x32_i8 v[176:179], a[42:43], v[138:139], v[176:179]// 000000005844: D3D700B0 0EC3152A
	buffer_load_dwordx4 a[104:107], v38, s[12:15], 0 offen     // 00000000584C: E05C1000 80836826
	v_mfma_i32_16x16x32_i8 v[180:183], a[40:41], v[152:153], v[180:183]// 000000005854: D3D700B4 0ED33128
	v_mfma_i32_16x16x32_i8 v[180:183], a[42:43], v[154:155], v[180:183]// 00000000585C: D3D700B4 0ED3352A
	v_mfma_i32_16x16x32_i8 v[184:187], a[44:45], v[136:137], v[184:187]// 000000005864: D3D700B8 0EE3112C
	v_mfma_i32_16x16x32_i8 v[184:187], a[46:47], v[138:139], v[184:187]// 00000000586C: D3D700B8 0EE3152E
	buffer_load_dwordx4 a[108:111], v39, s[12:15], 0 offen     // 000000005874: E05C1000 80836C27
	s_add_u32 s12, s78, s12                                    // 00000000587C: 800C0C4E
	s_addc_u32 s13, 0, s13                                     // 000000005880: 820D0D80
	v_mfma_i32_16x16x32_i8 v[188:191], a[44:45], v[152:153], v[188:191]// 000000005884: D3D700BC 0EF3312C
	v_mfma_i32_16x16x32_i8 v[188:191], a[46:47], v[154:155], v[188:191]// 00000000588C: D3D700BC 0EF3352E
	s_waitcnt vmcnt(28)                                        // 000000005894: BF8C4F7C
	v_mfma_i32_16x16x32_i8 v[160:163], a[48:49], v[140:141], v[160:163]// 000000005898: D3D700A0 0E831930
	v_mfma_i32_16x16x32_i8 v[160:163], a[50:51], v[142:143], v[160:163]// 0000000058A0: D3D700A0 0E831D32
	buffer_load_dwordx4 a[112:115], v36, s[12:15], 0 offen     // 0000000058A8: E05C1000 80837024
	v_mfma_i32_16x16x32_i8 v[164:167], a[48:49], v[156:157], v[164:167]// 0000000058B0: D3D700A4 0E933930
	v_mfma_i32_16x16x32_i8 v[164:167], a[50:51], v[158:159], v[164:167]// 0000000058B8: D3D700A4 0E933D32
	buffer_load_dword v12, v5, s[16:19], 0 offen               // 0000000058C0: E0501000 80040C05
	v_mfma_i32_16x16x32_i8 v[168:171], a[52:53], v[140:141], v[168:171]// 0000000058C8: D3D700A8 0EA31934
	v_mfma_i32_16x16x32_i8 v[168:171], a[54:55], v[142:143], v[168:171]// 0000000058D0: D3D700A8 0EA31D36
	buffer_load_dwordx4 a[116:119], v37, s[12:15], 0 offen     // 0000000058D8: E05C1000 80837425
	v_mfma_i32_16x16x32_i8 v[172:175], a[52:53], v[156:157], v[172:175]// 0000000058E0: D3D700AC 0EB33934
	v_mfma_i32_16x16x32_i8 v[172:175], a[54:55], v[158:159], v[172:175]// 0000000058E8: D3D700AC 0EB33D36
	v_mfma_i32_16x16x32_i8 v[176:179], a[56:57], v[140:141], v[176:179]// 0000000058F0: D3D700B0 0EC31938
	v_mfma_i32_16x16x32_i8 v[176:179], a[58:59], v[142:143], v[176:179]// 0000000058F8: D3D700B0 0EC31D3A
	buffer_load_dwordx4 a[120:123], v38, s[12:15], 0 offen     // 000000005900: E05C1000 80837826
	v_mfma_i32_16x16x32_i8 v[180:183], a[56:57], v[156:157], v[180:183]// 000000005908: D3D700B4 0ED33938
	v_mfma_i32_16x16x32_i8 v[180:183], a[58:59], v[158:159], v[180:183]// 000000005910: D3D700B4 0ED33D3A
	v_mfma_i32_16x16x32_i8 v[184:187], a[60:61], v[140:141], v[184:187]// 000000005918: D3D700B8 0EE3193C
	v_mfma_i32_16x16x32_i8 v[184:187], a[62:63], v[142:143], v[184:187]// 000000005920: D3D700B8 0EE31D3E
	buffer_load_dwordx4 a[124:127], v39, s[12:15], 0 offen     // 000000005928: E05C1000 80837C27
	v_mfma_i32_16x16x32_i8 v[188:191], a[60:61], v[156:157], v[188:191]// 000000005930: D3D700BC 0EF3393C
	v_mfma_i32_16x16x32_i8 v[188:191], a[62:63], v[158:159], v[188:191]// 000000005938: D3D700BC 0EF33D3E
	s_add_u32 s60, 0x200, s80                                  // 000000005940: 803C50FF 00000200
	s_cmp_lt_u32 s60, s81                                      // 000000005948: BF0A513C
	s_cselect_b32 s56, s56, 0                                  // 00000000594C: 85388038
	s_cselect_b32 s78, s78, 0                                  // 000000005950: 854E804E
	s_cselect_b32 s79, s79, 0                                  // 000000005954: 854F804F
	s_add_u32 s12, s56, s12                                    // 000000005958: 800C0C38
	s_addc_u32 s13, 0, s13                                     // 00000000595C: 820D0D80
	s_add_u32 s16, s79, s16                                    // 000000005960: 8010104F
	s_addc_u32 s17, 0, s17                                     // 000000005964: 82111180
	v_cvt_f32_i32_e32 v160, v160                               // 000000005968: 7F400BA0
	v_cvt_f32_i32_e32 v161, v161                               // 00000000596C: 7F420BA1
	v_cvt_f32_i32_e32 v162, v162                               // 000000005970: 7F440BA2
	v_cvt_f32_i32_e32 v163, v163                               // 000000005974: 7F460BA3
	v_mul_f32_e32 v160, v22, v160                              // 000000005978: 0B414116
	v_mul_f32_e32 v161, v22, v161                              // 00000000597C: 0B434316
	v_mul_f32_e32 v162, v22, v162                              // 000000005980: 0B454516
	v_mul_f32_e32 v163, v22, v163                              // 000000005984: 0B474716
	v_mul_f32_dpp v160, v11, v160 row_newbcast:0 row_mask:0xf bank_mask:0xf// 000000005988: 0B4140FA FF01500B
	v_mul_f32_dpp v161, v11, v161 row_newbcast:1 row_mask:0xf bank_mask:0xf// 000000005990: 0B4342FA FF01510B
	v_mul_f32_dpp v162, v11, v162 row_newbcast:2 row_mask:0xf bank_mask:0xf// 000000005998: 0B4544FA FF01520B
	v_mul_f32_dpp v163, v11, v163 row_newbcast:3 row_mask:0xf bank_mask:0xf// 0000000059A0: 0B4746FA FF01530B
	v_mul_f32_e32 v160, v17, v160                              // 0000000059A8: 0B414111
	v_mul_f32_e32 v161, v17, v161                              // 0000000059AC: 0B434311
	v_mul_f32_e32 v162, v17, v162                              // 0000000059B0: 0B454511
	v_mul_f32_e32 v163, v17, v163                              // 0000000059B4: 0B474711
	v_cvt_f32_i32_e32 v164, v164                               // 0000000059B8: 7F480BA4
	v_cvt_f32_i32_e32 v165, v165                               // 0000000059BC: 7F4A0BA5
	v_cvt_f32_i32_e32 v166, v166                               // 0000000059C0: 7F4C0BA6
	v_cvt_f32_i32_e32 v167, v167                               // 0000000059C4: 7F4E0BA7
	v_mul_f32_e32 v164, v23, v164                              // 0000000059C8: 0B494917
	v_mul_f32_e32 v165, v23, v165                              // 0000000059CC: 0B4B4B17
	v_mul_f32_e32 v166, v23, v166                              // 0000000059D0: 0B4D4D17
	v_mul_f32_e32 v167, v23, v167                              // 0000000059D4: 0B4F4F17
	v_mul_f32_dpp v164, v11, v164 row_newbcast:0 row_mask:0xf bank_mask:0xf// 0000000059D8: 0B4948FA FF01500B
	v_mul_f32_dpp v165, v11, v165 row_newbcast:1 row_mask:0xf bank_mask:0xf// 0000000059E0: 0B4B4AFA FF01510B
	v_mul_f32_dpp v166, v11, v166 row_newbcast:2 row_mask:0xf bank_mask:0xf// 0000000059E8: 0B4D4CFA FF01520B
	v_mul_f32_dpp v167, v11, v167 row_newbcast:3 row_mask:0xf bank_mask:0xf// 0000000059F0: 0B4F4EFA FF01530B
	v_mul_f32_e32 v164, v18, v164                              // 0000000059F8: 0B494912
	v_mul_f32_e32 v165, v18, v165                              // 0000000059FC: 0B4B4B12
	v_mul_f32_e32 v166, v18, v166                              // 000000005A00: 0B4D4D12
	v_mul_f32_e32 v167, v18, v167                              // 000000005A04: 0B4F4F12
	v_cvt_f32_i32_e32 v168, v168                               // 000000005A08: 7F500BA8
	v_cvt_f32_i32_e32 v169, v169                               // 000000005A0C: 7F520BA9
	v_cvt_f32_i32_e32 v170, v170                               // 000000005A10: 7F540BAA
	v_cvt_f32_i32_e32 v171, v171                               // 000000005A14: 7F560BAB
	v_mul_f32_e32 v168, v22, v168                              // 000000005A18: 0B515116
	v_mul_f32_e32 v169, v22, v169                              // 000000005A1C: 0B535316
	v_mul_f32_e32 v170, v22, v170                              // 000000005A20: 0B555516
	v_mul_f32_e32 v171, v22, v171                              // 000000005A24: 0B575716
	v_mul_f32_dpp v168, v11, v168 row_newbcast:4 row_mask:0xf bank_mask:0xf// 000000005A28: 0B5150FA FF01540B
	v_mul_f32_dpp v169, v11, v169 row_newbcast:5 row_mask:0xf bank_mask:0xf// 000000005A30: 0B5352FA FF01550B
	v_mul_f32_dpp v170, v11, v170 row_newbcast:6 row_mask:0xf bank_mask:0xf// 000000005A38: 0B5554FA FF01560B
	v_mul_f32_dpp v171, v11, v171 row_newbcast:7 row_mask:0xf bank_mask:0xf// 000000005A40: 0B5756FA FF01570B
	v_mul_f32_e32 v168, v17, v168                              // 000000005A48: 0B515111
	v_mul_f32_e32 v169, v17, v169                              // 000000005A4C: 0B535311
	v_mul_f32_e32 v170, v17, v170                              // 000000005A50: 0B555511
	v_mul_f32_e32 v171, v17, v171                              // 000000005A54: 0B575711
	v_cvt_f32_i32_e32 v172, v172                               // 000000005A58: 7F580BAC
	v_cvt_f32_i32_e32 v173, v173                               // 000000005A5C: 7F5A0BAD
	v_cvt_f32_i32_e32 v174, v174                               // 000000005A60: 7F5C0BAE
	v_cvt_f32_i32_e32 v175, v175                               // 000000005A64: 7F5E0BAF
	v_mul_f32_e32 v172, v23, v172                              // 000000005A68: 0B595917
	v_mul_f32_e32 v173, v23, v173                              // 000000005A6C: 0B5B5B17
	v_mul_f32_e32 v174, v23, v174                              // 000000005A70: 0B5D5D17
	v_mul_f32_e32 v175, v23, v175                              // 000000005A74: 0B5F5F17
	v_mul_f32_dpp v172, v11, v172 row_newbcast:4 row_mask:0xf bank_mask:0xf// 000000005A78: 0B5958FA FF01540B
	v_mul_f32_dpp v173, v11, v173 row_newbcast:5 row_mask:0xf bank_mask:0xf// 000000005A80: 0B5B5AFA FF01550B
	v_mul_f32_dpp v174, v11, v174 row_newbcast:6 row_mask:0xf bank_mask:0xf// 000000005A88: 0B5D5CFA FF01560B
	v_mul_f32_dpp v175, v11, v175 row_newbcast:7 row_mask:0xf bank_mask:0xf// 000000005A90: 0B5F5EFA FF01570B
	v_mul_f32_e32 v172, v18, v172                              // 000000005A98: 0B595912
	v_mul_f32_e32 v173, v18, v173                              // 000000005A9C: 0B5B5B12
	v_mul_f32_e32 v174, v18, v174                              // 000000005AA0: 0B5D5D12
	v_mul_f32_e32 v175, v18, v175                              // 000000005AA4: 0B5F5F12
	v_cvt_f32_i32_e32 v176, v176                               // 000000005AA8: 7F600BB0
	v_cvt_f32_i32_e32 v177, v177                               // 000000005AAC: 7F620BB1
	v_cvt_f32_i32_e32 v178, v178                               // 000000005AB0: 7F640BB2
	v_cvt_f32_i32_e32 v179, v179                               // 000000005AB4: 7F660BB3
	v_mul_f32_e32 v176, v22, v176                              // 000000005AB8: 0B616116
	v_mul_f32_e32 v177, v22, v177                              // 000000005ABC: 0B636316
	v_mul_f32_e32 v178, v22, v178                              // 000000005AC0: 0B656516
	v_mul_f32_e32 v179, v22, v179                              // 000000005AC4: 0B676716
	v_mul_f32_dpp v176, v11, v176 row_newbcast:8 row_mask:0xf bank_mask:0xf// 000000005AC8: 0B6160FA FF01580B
	v_mul_f32_dpp v177, v11, v177 row_newbcast:9 row_mask:0xf bank_mask:0xf// 000000005AD0: 0B6362FA FF01590B
	v_mul_f32_dpp v178, v11, v178 row_newbcast:10 row_mask:0xf bank_mask:0xf// 000000005AD8: 0B6564FA FF015A0B
	v_mul_f32_dpp v179, v11, v179 row_newbcast:11 row_mask:0xf bank_mask:0xf// 000000005AE0: 0B6766FA FF015B0B
	v_mul_f32_e32 v176, v17, v176                              // 000000005AE8: 0B616111
	v_mul_f32_e32 v177, v17, v177                              // 000000005AEC: 0B636311
	v_mul_f32_e32 v178, v17, v178                              // 000000005AF0: 0B656511
	v_mul_f32_e32 v179, v17, v179                              // 000000005AF4: 0B676711
	v_cvt_f32_i32_e32 v180, v180                               // 000000005AF8: 7F680BB4
	v_cvt_f32_i32_e32 v181, v181                               // 000000005AFC: 7F6A0BB5
	v_cvt_f32_i32_e32 v182, v182                               // 000000005B00: 7F6C0BB6
	v_cvt_f32_i32_e32 v183, v183                               // 000000005B04: 7F6E0BB7
	v_mul_f32_e32 v180, v23, v180                              // 000000005B08: 0B696917
	v_mul_f32_e32 v181, v23, v181                              // 000000005B0C: 0B6B6B17
	v_mul_f32_e32 v182, v23, v182                              // 000000005B10: 0B6D6D17
	v_mul_f32_e32 v183, v23, v183                              // 000000005B14: 0B6F6F17
	v_mul_f32_dpp v180, v11, v180 row_newbcast:8 row_mask:0xf bank_mask:0xf// 000000005B18: 0B6968FA FF01580B
	v_mul_f32_dpp v181, v11, v181 row_newbcast:9 row_mask:0xf bank_mask:0xf// 000000005B20: 0B6B6AFA FF01590B
	v_mul_f32_dpp v182, v11, v182 row_newbcast:10 row_mask:0xf bank_mask:0xf// 000000005B28: 0B6D6CFA FF015A0B
	v_mul_f32_dpp v183, v11, v183 row_newbcast:11 row_mask:0xf bank_mask:0xf// 000000005B30: 0B6F6EFA FF015B0B
	v_mul_f32_e32 v180, v18, v180                              // 000000005B38: 0B696912
	v_mul_f32_e32 v181, v18, v181                              // 000000005B3C: 0B6B6B12
	v_mul_f32_e32 v182, v18, v182                              // 000000005B40: 0B6D6D12
	v_mul_f32_e32 v183, v18, v183                              // 000000005B44: 0B6F6F12
	v_cvt_f32_i32_e32 v184, v184                               // 000000005B48: 7F700BB8
	v_cvt_f32_i32_e32 v185, v185                               // 000000005B4C: 7F720BB9
	v_cvt_f32_i32_e32 v186, v186                               // 000000005B50: 7F740BBA
	v_cvt_f32_i32_e32 v187, v187                               // 000000005B54: 7F760BBB
	v_mul_f32_e32 v184, v22, v184                              // 000000005B58: 0B717116
	v_mul_f32_e32 v185, v22, v185                              // 000000005B5C: 0B737316
	v_mul_f32_e32 v186, v22, v186                              // 000000005B60: 0B757516
	v_mul_f32_e32 v187, v22, v187                              // 000000005B64: 0B777716
	v_mul_f32_dpp v184, v11, v184 row_newbcast:12 row_mask:0xf bank_mask:0xf// 000000005B68: 0B7170FA FF015C0B
	v_mul_f32_dpp v185, v11, v185 row_newbcast:13 row_mask:0xf bank_mask:0xf// 000000005B70: 0B7372FA FF015D0B
	v_mul_f32_dpp v186, v11, v186 row_newbcast:14 row_mask:0xf bank_mask:0xf// 000000005B78: 0B7574FA FF015E0B
	v_mul_f32_dpp v187, v11, v187 row_newbcast:15 row_mask:0xf bank_mask:0xf// 000000005B80: 0B7776FA FF015F0B
	v_mul_f32_e32 v184, v17, v184                              // 000000005B88: 0B717111
	v_mul_f32_e32 v185, v17, v185                              // 000000005B8C: 0B737311
	v_mul_f32_e32 v186, v17, v186                              // 000000005B90: 0B757511
	v_mul_f32_e32 v187, v17, v187                              // 000000005B94: 0B777711
	v_cvt_f32_i32_e32 v188, v188                               // 000000005B98: 7F780BBC
	v_cvt_f32_i32_e32 v189, v189                               // 000000005B9C: 7F7A0BBD
	v_cvt_f32_i32_e32 v190, v190                               // 000000005BA0: 7F7C0BBE
	v_cvt_f32_i32_e32 v191, v191                               // 000000005BA4: 7F7E0BBF
	v_mul_f32_e32 v188, v23, v188                              // 000000005BA8: 0B797917
	v_mul_f32_e32 v189, v23, v189                              // 000000005BAC: 0B7B7B17
	v_mul_f32_e32 v190, v23, v190                              // 000000005BB0: 0B7D7D17
	v_mul_f32_e32 v191, v23, v191                              // 000000005BB4: 0B7F7F17
	v_mul_f32_dpp v188, v11, v188 row_newbcast:12 row_mask:0xf bank_mask:0xf// 000000005BB8: 0B7978FA FF015C0B
	v_mul_f32_dpp v189, v11, v189 row_newbcast:13 row_mask:0xf bank_mask:0xf// 000000005BC0: 0B7B7AFA FF015D0B
	v_mul_f32_dpp v190, v11, v190 row_newbcast:14 row_mask:0xf bank_mask:0xf// 000000005BC8: 0B7D7CFA FF015E0B
	v_mul_f32_dpp v191, v11, v191 row_newbcast:15 row_mask:0xf bank_mask:0xf// 000000005BD0: 0B7F7EFA FF015F0B
	v_mul_f32_e32 v188, v18, v188                              // 000000005BD8: 0B797912
	v_mul_f32_e32 v189, v18, v189                              // 000000005BDC: 0B7B7B12
	v_mul_f32_e32 v190, v18, v190                              // 000000005BE0: 0B7D7D12
	v_mul_f32_e32 v191, v18, v191                              // 000000005BE4: 0B7F7F12
	v_cmp_u_f32_e64 s[48:49], v160, v160                       // 000000005BE8: D0480030 000341A0
	v_add3_u32 v40, v160, v43, 1                               // 000000005BF0: D1FF0028 020657A0
	v_cndmask_b32_e64 v46, v40, v42, s[48:49]                  // 000000005BF8: D100002E 00C25528
	v_cmp_u_f32_e64 s[48:49], v161, v161                       // 000000005C00: D0480030 000343A1
	v_add3_u32 v40, v161, v43, 1                               // 000000005C08: D1FF0028 020657A1
	v_cndmask_b32_e64 v47, v40, v42, s[48:49]                  // 000000005C10: D100002F 00C25528
	v_perm_b32 v160, v47, v46, s52                             // 000000005C18: D1ED00A0 00D25D2F
	v_cmp_u_f32_e64 s[48:49], v162, v162                       // 000000005C20: D0480030 000345A2
	v_add3_u32 v40, v162, v43, 1                               // 000000005C28: D1FF0028 020657A2
	v_cndmask_b32_e64 v46, v40, v42, s[48:49]                  // 000000005C30: D100002E 00C25528
	v_cmp_u_f32_e64 s[48:49], v163, v163                       // 000000005C38: D0480030 000347A3
	v_add3_u32 v40, v163, v43, 1                               // 000000005C40: D1FF0028 020657A3
	v_cndmask_b32_e64 v47, v40, v42, s[48:49]                  // 000000005C48: D100002F 00C25528
	v_perm_b32 v161, v47, v46, s52                             // 000000005C50: D1ED00A1 00D25D2F
	v_cmp_u_f32_e64 s[48:49], v164, v164                       // 000000005C58: D0480030 000349A4
	v_add3_u32 v40, v164, v43, 1                               // 000000005C60: D1FF0028 020657A4
	v_cndmask_b32_e64 v46, v40, v42, s[48:49]                  // 000000005C68: D100002E 00C25528
	v_cmp_u_f32_e64 s[48:49], v165, v165                       // 000000005C70: D0480030 00034BA5
	v_add3_u32 v40, v165, v43, 1                               // 000000005C78: D1FF0028 020657A5
	v_cndmask_b32_e64 v47, v40, v42, s[48:49]                  // 000000005C80: D100002F 00C25528
	v_perm_b32 v162, v47, v46, s52                             // 000000005C88: D1ED00A2 00D25D2F
	v_cmp_u_f32_e64 s[48:49], v166, v166                       // 000000005C90: D0480030 00034DA6
	v_add3_u32 v40, v166, v43, 1                               // 000000005C98: D1FF0028 020657A6
	v_cndmask_b32_e64 v46, v40, v42, s[48:49]                  // 000000005CA0: D100002E 00C25528
	v_cmp_u_f32_e64 s[48:49], v167, v167                       // 000000005CA8: D0480030 00034FA7
	v_add3_u32 v40, v167, v43, 1                               // 000000005CB0: D1FF0028 020657A7
	v_cndmask_b32_e64 v47, v40, v42, s[48:49]                  // 000000005CB8: D100002F 00C25528
	v_perm_b32 v163, v47, v46, s52                             // 000000005CC0: D1ED00A3 00D25D2F
	v_cmp_u_f32_e64 s[48:49], v168, v168                       // 000000005CC8: D0480030 000351A8
	v_add3_u32 v40, v168, v43, 1                               // 000000005CD0: D1FF0028 020657A8
	v_cndmask_b32_e64 v46, v40, v42, s[48:49]                  // 000000005CD8: D100002E 00C25528
	v_cmp_u_f32_e64 s[48:49], v169, v169                       // 000000005CE0: D0480030 000353A9
	v_add3_u32 v40, v169, v43, 1                               // 000000005CE8: D1FF0028 020657A9
	v_cndmask_b32_e64 v47, v40, v42, s[48:49]                  // 000000005CF0: D100002F 00C25528
	v_perm_b32 v164, v47, v46, s52                             // 000000005CF8: D1ED00A4 00D25D2F
	v_cmp_u_f32_e64 s[48:49], v170, v170                       // 000000005D00: D0480030 000355AA
	v_add3_u32 v40, v170, v43, 1                               // 000000005D08: D1FF0028 020657AA
	v_cndmask_b32_e64 v46, v40, v42, s[48:49]                  // 000000005D10: D100002E 00C25528
	v_cmp_u_f32_e64 s[48:49], v171, v171                       // 000000005D18: D0480030 000357AB
	v_add3_u32 v40, v171, v43, 1                               // 000000005D20: D1FF0028 020657AB
	v_cndmask_b32_e64 v47, v40, v42, s[48:49]                  // 000000005D28: D100002F 00C25528
	v_perm_b32 v165, v47, v46, s52                             // 000000005D30: D1ED00A5 00D25D2F
	v_cmp_u_f32_e64 s[48:49], v172, v172                       // 000000005D38: D0480030 000359AC
	v_add3_u32 v40, v172, v43, 1                               // 000000005D40: D1FF0028 020657AC
	v_cndmask_b32_e64 v46, v40, v42, s[48:49]                  // 000000005D48: D100002E 00C25528
	v_cmp_u_f32_e64 s[48:49], v173, v173                       // 000000005D50: D0480030 00035BAD
	v_add3_u32 v40, v173, v43, 1                               // 000000005D58: D1FF0028 020657AD
	v_cndmask_b32_e64 v47, v40, v42, s[48:49]                  // 000000005D60: D100002F 00C25528
	v_perm_b32 v166, v47, v46, s52                             // 000000005D68: D1ED00A6 00D25D2F
	v_cmp_u_f32_e64 s[48:49], v174, v174                       // 000000005D70: D0480030 00035DAE
	v_add3_u32 v40, v174, v43, 1                               // 000000005D78: D1FF0028 020657AE
	v_cndmask_b32_e64 v46, v40, v42, s[48:49]                  // 000000005D80: D100002E 00C25528
	v_cmp_u_f32_e64 s[48:49], v175, v175                       // 000000005D88: D0480030 00035FAF
	v_add3_u32 v40, v175, v43, 1                               // 000000005D90: D1FF0028 020657AF
	v_cndmask_b32_e64 v47, v40, v42, s[48:49]                  // 000000005D98: D100002F 00C25528
	v_perm_b32 v167, v47, v46, s52                             // 000000005DA0: D1ED00A7 00D25D2F
	v_cmp_u_f32_e64 s[48:49], v176, v176                       // 000000005DA8: D0480030 000361B0
	v_add3_u32 v40, v176, v43, 1                               // 000000005DB0: D1FF0028 020657B0
	v_cndmask_b32_e64 v46, v40, v42, s[48:49]                  // 000000005DB8: D100002E 00C25528
	v_cmp_u_f32_e64 s[48:49], v177, v177                       // 000000005DC0: D0480030 000363B1
	v_add3_u32 v40, v177, v43, 1                               // 000000005DC8: D1FF0028 020657B1
	v_cndmask_b32_e64 v47, v40, v42, s[48:49]                  // 000000005DD0: D100002F 00C25528
	v_perm_b32 v168, v47, v46, s52                             // 000000005DD8: D1ED00A8 00D25D2F
	v_cmp_u_f32_e64 s[48:49], v178, v178                       // 000000005DE0: D0480030 000365B2
	v_add3_u32 v40, v178, v43, 1                               // 000000005DE8: D1FF0028 020657B2
	v_cndmask_b32_e64 v46, v40, v42, s[48:49]                  // 000000005DF0: D100002E 00C25528
	v_cmp_u_f32_e64 s[48:49], v179, v179                       // 000000005DF8: D0480030 000367B3
	v_add3_u32 v40, v179, v43, 1                               // 000000005E00: D1FF0028 020657B3
	v_cndmask_b32_e64 v47, v40, v42, s[48:49]                  // 000000005E08: D100002F 00C25528
	v_perm_b32 v169, v47, v46, s52                             // 000000005E10: D1ED00A9 00D25D2F
	v_cmp_u_f32_e64 s[48:49], v180, v180                       // 000000005E18: D0480030 000369B4
	v_add3_u32 v40, v180, v43, 1                               // 000000005E20: D1FF0028 020657B4
	v_cndmask_b32_e64 v46, v40, v42, s[48:49]                  // 000000005E28: D100002E 00C25528
	v_cmp_u_f32_e64 s[48:49], v181, v181                       // 000000005E30: D0480030 00036BB5
	v_add3_u32 v40, v181, v43, 1                               // 000000005E38: D1FF0028 020657B5
	v_cndmask_b32_e64 v47, v40, v42, s[48:49]                  // 000000005E40: D100002F 00C25528
	v_perm_b32 v170, v47, v46, s52                             // 000000005E48: D1ED00AA 00D25D2F
	v_cmp_u_f32_e64 s[48:49], v182, v182                       // 000000005E50: D0480030 00036DB6
	v_add3_u32 v40, v182, v43, 1                               // 000000005E58: D1FF0028 020657B6
	v_cndmask_b32_e64 v46, v40, v42, s[48:49]                  // 000000005E60: D100002E 00C25528
	v_cmp_u_f32_e64 s[48:49], v183, v183                       // 000000005E68: D0480030 00036FB7
	v_add3_u32 v40, v183, v43, 1                               // 000000005E70: D1FF0028 020657B7
	v_cndmask_b32_e64 v47, v40, v42, s[48:49]                  // 000000005E78: D100002F 00C25528
	v_perm_b32 v171, v47, v46, s52                             // 000000005E80: D1ED00AB 00D25D2F
	v_cmp_u_f32_e64 s[48:49], v184, v184                       // 000000005E88: D0480030 000371B8
	v_add3_u32 v40, v184, v43, 1                               // 000000005E90: D1FF0028 020657B8
	v_cndmask_b32_e64 v46, v40, v42, s[48:49]                  // 000000005E98: D100002E 00C25528
	v_cmp_u_f32_e64 s[48:49], v185, v185                       // 000000005EA0: D0480030 000373B9
	v_add3_u32 v40, v185, v43, 1                               // 000000005EA8: D1FF0028 020657B9
	v_cndmask_b32_e64 v47, v40, v42, s[48:49]                  // 000000005EB0: D100002F 00C25528
	v_perm_b32 v172, v47, v46, s52                             // 000000005EB8: D1ED00AC 00D25D2F
	v_cmp_u_f32_e64 s[48:49], v186, v186                       // 000000005EC0: D0480030 000375BA
	v_add3_u32 v40, v186, v43, 1                               // 000000005EC8: D1FF0028 020657BA
	v_cndmask_b32_e64 v46, v40, v42, s[48:49]                  // 000000005ED0: D100002E 00C25528
	v_cmp_u_f32_e64 s[48:49], v187, v187                       // 000000005ED8: D0480030 000377BB
	v_add3_u32 v40, v187, v43, 1                               // 000000005EE0: D1FF0028 020657BB
	v_cndmask_b32_e64 v47, v40, v42, s[48:49]                  // 000000005EE8: D100002F 00C25528
	v_perm_b32 v173, v47, v46, s52                             // 000000005EF0: D1ED00AD 00D25D2F
	v_cmp_u_f32_e64 s[48:49], v188, v188                       // 000000005EF8: D0480030 000379BC
	v_add3_u32 v40, v188, v43, 1                               // 000000005F00: D1FF0028 020657BC
	v_cndmask_b32_e64 v46, v40, v42, s[48:49]                  // 000000005F08: D100002E 00C25528
	v_cmp_u_f32_e64 s[48:49], v189, v189                       // 000000005F10: D0480030 00037BBD
	v_add3_u32 v40, v189, v43, 1                               // 000000005F18: D1FF0028 020657BD
	v_cndmask_b32_e64 v47, v40, v42, s[48:49]                  // 000000005F20: D100002F 00C25528
	v_perm_b32 v174, v47, v46, s52                             // 000000005F28: D1ED00AE 00D25D2F
	v_cmp_u_f32_e64 s[48:49], v190, v190                       // 000000005F30: D0480030 00037DBE
	v_add3_u32 v40, v190, v43, 1                               // 000000005F38: D1FF0028 020657BE
	v_cndmask_b32_e64 v46, v40, v42, s[48:49]                  // 000000005F40: D100002E 00C25528
	v_cmp_u_f32_e64 s[48:49], v191, v191                       // 000000005F48: D0480030 00037FBF
	v_add3_u32 v40, v191, v43, 1                               // 000000005F50: D1FF0028 020657BF
	v_cndmask_b32_e64 v47, v40, v42, s[48:49]                  // 000000005F58: D100002F 00C25528
	v_perm_b32 v175, v47, v46, s52                             // 000000005F60: D1ED00AF 00D25D2F
	ds_write_b64 v3, v[160:161] offset:26880                   // 000000005F68: D89A6900 0000A003
	ds_write_b64 v3, v[162:163] offset:35584                   // 000000005F70: D89A8B00 0000A203
	ds_write_b64 v3, v[164:165] offset:29056                   // 000000005F78: D89A7180 0000A403
	ds_write_b64 v3, v[166:167] offset:37760                   // 000000005F80: D89A9380 0000A603
	ds_write_b64 v3, v[168:169] offset:31232                   // 000000005F88: D89A7A00 0000A803
	ds_write_b64 v3, v[170:171] offset:39936                   // 000000005F90: D89A9C00 0000AA03
	ds_write_b64 v3, v[172:173] offset:33408                   // 000000005F98: D89A8280 0000AC03
	ds_write_b64 v3, v[174:175] offset:42112                   // 000000005FA0: D89AA480 0000AE03
	s_waitcnt lgkmcnt(0)                                       // 000000005FA8: BF8CC07F
	s_barrier                                                  // 000000005FAC: BF8A0000
	ds_read_b32 v64, v4 offset:26880                           // 000000005FB0: D86C6900 40000004
	ds_read_b32 v65, v4 offset:31232                           // 000000005FB8: D86C7A00 41000004
	ds_read_b32 v66, v4 offset:26912                           // 000000005FC0: D86C6920 42000004
	ds_read_b32 v67, v4 offset:31264                           // 000000005FC8: D86C7A20 43000004
	ds_read_b32 v68, v4 offset:26944                           // 000000005FD0: D86C6940 44000004
	ds_read_b32 v69, v4 offset:31296                           // 000000005FD8: D86C7A40 45000004
	ds_read_b32 v70, v4 offset:26976                           // 000000005FE0: D86C6960 46000004
	ds_read_b32 v71, v4 offset:31328                           // 000000005FE8: D86C7A60 47000004
	ds_read_b32 v72, v4 offset:35584                           // 000000005FF0: D86C8B00 48000004
	ds_read_b32 v73, v4 offset:39936                           // 000000005FF8: D86C9C00 49000004
	ds_read_b32 v74, v4 offset:35616                           // 000000006000: D86C8B20 4A000004
	ds_read_b32 v75, v4 offset:39968                           // 000000006008: D86C9C20 4B000004
	ds_read_b32 v76, v4 offset:35648                           // 000000006010: D86C8B40 4C000004
	ds_read_b32 v77, v4 offset:40000                           // 000000006018: D86C9C40 4D000004
	ds_read_b32 v78, v4 offset:35680                           // 000000006020: D86C8B60 4E000004
	ds_read_b32 v79, v4 offset:40032                           // 000000006028: D86C9C60 4F000004
	s_waitcnt lgkmcnt(0)                                       // 000000006030: BF8CC07F
	s_mov_b64 exec, s[20:21]                                   // 000000006034: BEFE0114
	global_atomic_pk_add_bf16 v80, v64, s[8:9]                 // 000000006038: DD488000 00084050
	s_mov_b64 exec, s[36:37]                                   // 000000006040: BEFE0124
	s_mov_b64 exec, s[20:21]                                   // 000000006044: BEFE0114
	global_atomic_pk_add_bf16 v80, v65, s[8:9] offset:256      // 000000006048: DD488100 00084150
	s_mov_b64 exec, s[36:37]                                   // 000000006050: BEFE0124
	s_mov_b64 exec, s[22:23]                                   // 000000006054: BEFE0116
	global_atomic_pk_add_bf16 v82, v66, s[8:9]                 // 000000006058: DD488000 00084252
	s_mov_b64 exec, s[36:37]                                   // 000000006060: BEFE0124
	s_mov_b64 exec, s[22:23]                                   // 000000006064: BEFE0116
	global_atomic_pk_add_bf16 v82, v67, s[8:9] offset:256      // 000000006068: DD488100 00084352
	s_mov_b64 exec, s[36:37]                                   // 000000006070: BEFE0124
	s_mov_b64 exec, s[24:25]                                   // 000000006074: BEFE0118
	global_atomic_pk_add_bf16 v84, v68, s[8:9]                 // 000000006078: DD488000 00084454
	s_mov_b64 exec, s[36:37]                                   // 000000006080: BEFE0124
	s_mov_b64 exec, s[24:25]                                   // 000000006084: BEFE0118
	global_atomic_pk_add_bf16 v84, v69, s[8:9] offset:256      // 000000006088: DD488100 00084554
	s_mov_b64 exec, s[36:37]                                   // 000000006090: BEFE0124
	s_mov_b64 exec, s[26:27]                                   // 000000006094: BEFE011A
	global_atomic_pk_add_bf16 v86, v70, s[8:9]                 // 000000006098: DD488000 00084656
	s_mov_b64 exec, s[36:37]                                   // 0000000060A0: BEFE0124
	s_mov_b64 exec, s[26:27]                                   // 0000000060A4: BEFE011A
	global_atomic_pk_add_bf16 v86, v71, s[8:9] offset:256      // 0000000060A8: DD488100 00084756
	s_mov_b64 exec, s[36:37]                                   // 0000000060B0: BEFE0124
	s_mov_b64 exec, s[28:29]                                   // 0000000060B4: BEFE011C
	global_atomic_pk_add_bf16 v88, v72, s[8:9]                 // 0000000060B8: DD488000 00084858
	s_mov_b64 exec, s[36:37]                                   // 0000000060C0: BEFE0124
	s_mov_b64 exec, s[28:29]                                   // 0000000060C4: BEFE011C
	global_atomic_pk_add_bf16 v88, v73, s[8:9] offset:256      // 0000000060C8: DD488100 00084958
	s_mov_b64 exec, s[36:37]                                   // 0000000060D0: BEFE0124
	s_mov_b64 exec, s[30:31]                                   // 0000000060D4: BEFE011E
	global_atomic_pk_add_bf16 v90, v74, s[8:9]                 // 0000000060D8: DD488000 00084A5A
	s_mov_b64 exec, s[36:37]                                   // 0000000060E0: BEFE0124
	s_mov_b64 exec, s[30:31]                                   // 0000000060E4: BEFE011E
	global_atomic_pk_add_bf16 v90, v75, s[8:9] offset:256      // 0000000060E8: DD488100 00084B5A
	s_mov_b64 exec, s[36:37]                                   // 0000000060F0: BEFE0124
	s_mov_b64 exec, s[32:33]                                   // 0000000060F4: BEFE0120
	global_atomic_pk_add_bf16 v92, v76, s[8:9]                 // 0000000060F8: DD488000 00084C5C
	s_mov_b64 exec, s[36:37]                                   // 000000006100: BEFE0124
	s_mov_b64 exec, s[32:33]                                   // 000000006104: BEFE0120
	global_atomic_pk_add_bf16 v92, v77, s[8:9] offset:256      // 000000006108: DD488100 00084D5C
	s_mov_b64 exec, s[36:37]                                   // 000000006110: BEFE0124
	s_mov_b64 exec, s[34:35]                                   // 000000006114: BEFE0122
	global_atomic_pk_add_bf16 v94, v78, s[8:9]                 // 000000006118: DD488000 00084E5E
	s_mov_b64 exec, s[36:37]                                   // 000000006120: BEFE0124
	s_mov_b64 exec, s[34:35]                                   // 000000006124: BEFE0122
	global_atomic_pk_add_bf16 v94, v79, s[8:9] offset:256      // 000000006128: DD488100 00084F5E
	s_mov_b64 exec, s[36:37]                                   // 000000006130: BEFE0124
	s_add_u32 s8, s59, s8                                      // 000000006134: 8008083B
	s_addc_u32 s9, 0, s9                                       // 000000006138: 82090980
	s_addk_i32 s80, 0x100                                      // 00000000613C: B7500100
	s_cmp_lt_i32 s80, s81                                      // 000000006140: BF045150
	s_cbranch_scc0 label_0F82                                  // 000000006144: BF8402B0
	s_waitcnt vmcnt(29)                                        // 000000006148: BF8C4F7D
	s_barrier                                                  // 00000000614C: BF8A0000
	v_mfma_i32_16x16x32_i8 v[192:195], a[64:65], v[128:129], 0 // 000000006150: D3D700C0 0A030140
	v_mfma_i32_16x16x32_i8 v[192:195], a[66:67], v[130:131], v[192:195]// 000000006158: D3D700C0 0F030542
	buffer_load_dwordx4 a[0:3], v36, s[12:15], 0 offen         // 000000006160: E05C1000 80830024
	v_mfma_i32_16x16x32_i8 v[196:199], a[64:65], v[144:145], 0 // 000000006168: D3D700C4 0A032140
	v_mfma_i32_16x16x32_i8 v[196:199], a[66:67], v[146:147], v[196:199]// 000000006170: D3D700C4 0F132542
	v_mfma_i32_16x16x32_i8 v[200:203], a[68:69], v[128:129], 0 // 000000006178: D3D700C8 0A030144
	v_mfma_i32_16x16x32_i8 v[200:203], a[70:71], v[130:131], v[200:203]// 000000006180: D3D700C8 0F230546
	buffer_load_dwordx4 a[4:7], v37, s[12:15], 0 offen         // 000000006188: E05C1000 80830425
	v_mfma_i32_16x16x32_i8 v[204:207], a[68:69], v[144:145], 0 // 000000006190: D3D700CC 0A032144
	v_mfma_i32_16x16x32_i8 v[204:207], a[70:71], v[146:147], v[204:207]// 000000006198: D3D700CC 0F332546
	v_mfma_i32_16x16x32_i8 v[208:211], a[72:73], v[128:129], 0 // 0000000061A0: D3D700D0 0A030148
	v_mfma_i32_16x16x32_i8 v[208:211], a[74:75], v[130:131], v[208:211]// 0000000061A8: D3D700D0 0F43054A
	buffer_load_dwordx4 a[8:11], v38, s[12:15], 0 offen        // 0000000061B0: E05C1000 80830826
	v_mfma_i32_16x16x32_i8 v[212:215], a[72:73], v[144:145], 0 // 0000000061B8: D3D700D4 0A032148
	v_mfma_i32_16x16x32_i8 v[212:215], a[74:75], v[146:147], v[212:215]// 0000000061C0: D3D700D4 0F53254A
	v_mfma_i32_16x16x32_i8 v[216:219], a[76:77], v[128:129], 0 // 0000000061C8: D3D700D8 0A03014C
	v_mfma_i32_16x16x32_i8 v[216:219], a[78:79], v[130:131], v[216:219]// 0000000061D0: D3D700D8 0F63054E
	buffer_load_dwordx4 a[12:15], v39, s[12:15], 0 offen       // 0000000061D8: E05C1000 80830C27
	s_add_u32 s12, s78, s12                                    // 0000000061E0: 800C0C4E
	s_addc_u32 s13, 0, s13                                     // 0000000061E4: 820D0D80
	v_mfma_i32_16x16x32_i8 v[220:223], a[76:77], v[144:145], 0 // 0000000061E8: D3D700DC 0A03214C
	v_mfma_i32_16x16x32_i8 v[220:223], a[78:79], v[146:147], v[220:223]// 0000000061F0: D3D700DC 0F73254E
	s_waitcnt vmcnt(29)                                        // 0000000061F8: BF8C4F7D
	v_mfma_i32_16x16x32_i8 v[192:195], a[80:81], v[132:133], v[192:195]// 0000000061FC: D3D700C0 0F030950
	v_mfma_i32_16x16x32_i8 v[192:195], a[82:83], v[134:135], v[192:195]// 000000006204: D3D700C0 0F030D52
	buffer_load_dwordx4 a[16:19], v36, s[12:15], 0 offen       // 00000000620C: E05C1000 80831024
	v_mfma_i32_16x16x32_i8 v[196:199], a[80:81], v[148:149], v[196:199]// 000000006214: D3D700C4 0F132950
	v_mfma_i32_16x16x32_i8 v[196:199], a[82:83], v[150:151], v[196:199]// 00000000621C: D3D700C4 0F132D52
	v_mfma_i32_16x16x32_i8 v[200:203], a[84:85], v[132:133], v[200:203]// 000000006224: D3D700C8 0F230954
	v_mfma_i32_16x16x32_i8 v[200:203], a[86:87], v[134:135], v[200:203]// 00000000622C: D3D700C8 0F230D56
	buffer_load_dwordx4 a[20:23], v37, s[12:15], 0 offen       // 000000006234: E05C1000 80831425
	v_mfma_i32_16x16x32_i8 v[204:207], a[84:85], v[148:149], v[204:207]// 00000000623C: D3D700CC 0F332954
	v_mfma_i32_16x16x32_i8 v[204:207], a[86:87], v[150:151], v[204:207]// 000000006244: D3D700CC 0F332D56
	v_mfma_i32_16x16x32_i8 v[208:211], a[88:89], v[132:133], v[208:211]// 00000000624C: D3D700D0 0F430958
	v_mfma_i32_16x16x32_i8 v[208:211], a[90:91], v[134:135], v[208:211]// 000000006254: D3D700D0 0F430D5A
	buffer_load_dwordx4 a[24:27], v38, s[12:15], 0 offen       // 00000000625C: E05C1000 80831826
	v_mfma_i32_16x16x32_i8 v[212:215], a[88:89], v[148:149], v[212:215]// 000000006264: D3D700D4 0F532958
	v_mfma_i32_16x16x32_i8 v[212:215], a[90:91], v[150:151], v[212:215]// 00000000626C: D3D700D4 0F532D5A
	v_mfma_i32_16x16x32_i8 v[216:219], a[92:93], v[132:133], v[216:219]// 000000006274: D3D700D8 0F63095C
	v_mfma_i32_16x16x32_i8 v[216:219], a[94:95], v[134:135], v[216:219]// 00000000627C: D3D700D8 0F630D5E
	buffer_load_dwordx4 a[28:31], v39, s[12:15], 0 offen       // 000000006284: E05C1000 80831C27
	s_add_u32 s12, s78, s12                                    // 00000000628C: 800C0C4E
	s_addc_u32 s13, 0, s13                                     // 000000006290: 820D0D80
	v_mfma_i32_16x16x32_i8 v[220:223], a[92:93], v[148:149], v[220:223]// 000000006294: D3D700DC 0F73295C
	v_mfma_i32_16x16x32_i8 v[220:223], a[94:95], v[150:151], v[220:223]// 00000000629C: D3D700DC 0F732D5E
	s_waitcnt vmcnt(29)                                        // 0000000062A4: BF8C4F7D
	v_mfma_i32_16x16x32_i8 v[192:195], a[96:97], v[136:137], v[192:195]// 0000000062A8: D3D700C0 0F031160
	v_mfma_i32_16x16x32_i8 v[192:195], a[98:99], v[138:139], v[192:195]// 0000000062B0: D3D700C0 0F031562
	buffer_load_dwordx4 a[32:35], v36, s[12:15], 0 offen       // 0000000062B8: E05C1000 80832024
	v_mfma_i32_16x16x32_i8 v[196:199], a[96:97], v[152:153], v[196:199]// 0000000062C0: D3D700C4 0F133160
	v_mfma_i32_16x16x32_i8 v[196:199], a[98:99], v[154:155], v[196:199]// 0000000062C8: D3D700C4 0F133562
	v_mfma_i32_16x16x32_i8 v[200:203], a[100:101], v[136:137], v[200:203]// 0000000062D0: D3D700C8 0F231164
	v_mfma_i32_16x16x32_i8 v[200:203], a[102:103], v[138:139], v[200:203]// 0000000062D8: D3D700C8 0F231566
	buffer_load_dwordx4 a[36:39], v37, s[12:15], 0 offen       // 0000000062E0: E05C1000 80832425
	v_mfma_i32_16x16x32_i8 v[204:207], a[100:101], v[152:153], v[204:207]// 0000000062E8: D3D700CC 0F333164
	v_mfma_i32_16x16x32_i8 v[204:207], a[102:103], v[154:155], v[204:207]// 0000000062F0: D3D700CC 0F333566
	v_mfma_i32_16x16x32_i8 v[208:211], a[104:105], v[136:137], v[208:211]// 0000000062F8: D3D700D0 0F431168
	v_mfma_i32_16x16x32_i8 v[208:211], a[106:107], v[138:139], v[208:211]// 000000006300: D3D700D0 0F43156A
	buffer_load_dwordx4 a[40:43], v38, s[12:15], 0 offen       // 000000006308: E05C1000 80832826
	v_mfma_i32_16x16x32_i8 v[212:215], a[104:105], v[152:153], v[212:215]// 000000006310: D3D700D4 0F533168
	v_mfma_i32_16x16x32_i8 v[212:215], a[106:107], v[154:155], v[212:215]// 000000006318: D3D700D4 0F53356A
	v_mfma_i32_16x16x32_i8 v[216:219], a[108:109], v[136:137], v[216:219]// 000000006320: D3D700D8 0F63116C
	v_mfma_i32_16x16x32_i8 v[216:219], a[110:111], v[138:139], v[216:219]// 000000006328: D3D700D8 0F63156E
	buffer_load_dwordx4 a[44:47], v39, s[12:15], 0 offen       // 000000006330: E05C1000 80832C27
	s_add_u32 s12, s78, s12                                    // 000000006338: 800C0C4E
	s_addc_u32 s13, 0, s13                                     // 00000000633C: 820D0D80
	v_mfma_i32_16x16x32_i8 v[220:223], a[108:109], v[152:153], v[220:223]// 000000006340: D3D700DC 0F73316C
	v_mfma_i32_16x16x32_i8 v[220:223], a[110:111], v[154:155], v[220:223]// 000000006348: D3D700DC 0F73356E
	s_waitcnt vmcnt(28)                                        // 000000006350: BF8C4F7C
	v_mfma_i32_16x16x32_i8 v[192:195], a[112:113], v[140:141], v[192:195]// 000000006354: D3D700C0 0F031970
	v_mfma_i32_16x16x32_i8 v[192:195], a[114:115], v[142:143], v[192:195]// 00000000635C: D3D700C0 0F031D72
	buffer_load_dwordx4 a[48:51], v36, s[12:15], 0 offen       // 000000006364: E05C1000 80833024
	v_mfma_i32_16x16x32_i8 v[196:199], a[112:113], v[156:157], v[196:199]// 00000000636C: D3D700C4 0F133970
	v_mfma_i32_16x16x32_i8 v[196:199], a[114:115], v[158:159], v[196:199]// 000000006374: D3D700C4 0F133D72
	buffer_load_dword v11, v5, s[16:19], 0 offen               // 00000000637C: E0501000 80040B05
	v_mfma_i32_16x16x32_i8 v[200:203], a[116:117], v[140:141], v[200:203]// 000000006384: D3D700C8 0F231974
	v_mfma_i32_16x16x32_i8 v[200:203], a[118:119], v[142:143], v[200:203]// 00000000638C: D3D700C8 0F231D76
	buffer_load_dwordx4 a[52:55], v37, s[12:15], 0 offen       // 000000006394: E05C1000 80833425
	v_mfma_i32_16x16x32_i8 v[204:207], a[116:117], v[156:157], v[204:207]// 00000000639C: D3D700CC 0F333974
	v_mfma_i32_16x16x32_i8 v[204:207], a[118:119], v[158:159], v[204:207]// 0000000063A4: D3D700CC 0F333D76
	v_mfma_i32_16x16x32_i8 v[208:211], a[120:121], v[140:141], v[208:211]// 0000000063AC: D3D700D0 0F431978
	v_mfma_i32_16x16x32_i8 v[208:211], a[122:123], v[142:143], v[208:211]// 0000000063B4: D3D700D0 0F431D7A
	buffer_load_dwordx4 a[56:59], v38, s[12:15], 0 offen       // 0000000063BC: E05C1000 80833826
	v_mfma_i32_16x16x32_i8 v[212:215], a[120:121], v[156:157], v[212:215]// 0000000063C4: D3D700D4 0F533978
	v_mfma_i32_16x16x32_i8 v[212:215], a[122:123], v[158:159], v[212:215]// 0000000063CC: D3D700D4 0F533D7A
	v_mfma_i32_16x16x32_i8 v[216:219], a[124:125], v[140:141], v[216:219]// 0000000063D4: D3D700D8 0F63197C
	v_mfma_i32_16x16x32_i8 v[216:219], a[126:127], v[142:143], v[216:219]// 0000000063DC: D3D700D8 0F631D7E
	buffer_load_dwordx4 a[60:63], v39, s[12:15], 0 offen       // 0000000063E4: E05C1000 80833C27
	v_mfma_i32_16x16x32_i8 v[220:223], a[124:125], v[156:157], v[220:223]// 0000000063EC: D3D700DC 0F73397C
	v_mfma_i32_16x16x32_i8 v[220:223], a[126:127], v[158:159], v[220:223]// 0000000063F4: D3D700DC 0F733D7E
	s_add_u32 s60, 0x200, s80                                  // 0000000063FC: 803C50FF 00000200
	s_cmp_lt_u32 s60, s81                                      // 000000006404: BF0A513C
	s_cselect_b32 s56, s56, 0                                  // 000000006408: 85388038
	s_cselect_b32 s78, s78, 0                                  // 00000000640C: 854E804E
	s_cselect_b32 s79, s79, 0                                  // 000000006410: 854F804F
	s_add_u32 s12, s56, s12                                    // 000000006414: 800C0C38
	s_addc_u32 s13, 0, s13                                     // 000000006418: 820D0D80
	s_add_u32 s16, s79, s16                                    // 00000000641C: 8010104F
	s_addc_u32 s17, 0, s17                                     // 000000006420: 82111180
	v_cvt_f32_i32_e32 v192, v192                               // 000000006424: 7F800BC0
	v_cvt_f32_i32_e32 v193, v193                               // 000000006428: 7F820BC1
	v_cvt_f32_i32_e32 v194, v194                               // 00000000642C: 7F840BC2
	v_cvt_f32_i32_e32 v195, v195                               // 000000006430: 7F860BC3
	v_mul_f32_e32 v192, v22, v192                              // 000000006434: 0B818116
	v_mul_f32_e32 v193, v22, v193                              // 000000006438: 0B838316
	v_mul_f32_e32 v194, v22, v194                              // 00000000643C: 0B858516
	v_mul_f32_e32 v195, v22, v195                              // 000000006440: 0B878716
	v_mul_f32_dpp v192, v12, v192 row_newbcast:0 row_mask:0xf bank_mask:0xf// 000000006444: 0B8180FA FF01500C
	v_mul_f32_dpp v193, v12, v193 row_newbcast:1 row_mask:0xf bank_mask:0xf// 00000000644C: 0B8382FA FF01510C
	v_mul_f32_dpp v194, v12, v194 row_newbcast:2 row_mask:0xf bank_mask:0xf// 000000006454: 0B8584FA FF01520C
	v_mul_f32_dpp v195, v12, v195 row_newbcast:3 row_mask:0xf bank_mask:0xf// 00000000645C: 0B8786FA FF01530C
	v_mul_f32_e32 v192, v17, v192                              // 000000006464: 0B818111
	v_mul_f32_e32 v193, v17, v193                              // 000000006468: 0B838311
	v_mul_f32_e32 v194, v17, v194                              // 00000000646C: 0B858511
	v_mul_f32_e32 v195, v17, v195                              // 000000006470: 0B878711
	v_cvt_f32_i32_e32 v196, v196                               // 000000006474: 7F880BC4
	v_cvt_f32_i32_e32 v197, v197                               // 000000006478: 7F8A0BC5
	v_cvt_f32_i32_e32 v198, v198                               // 00000000647C: 7F8C0BC6
	v_cvt_f32_i32_e32 v199, v199                               // 000000006480: 7F8E0BC7
	v_mul_f32_e32 v196, v23, v196                              // 000000006484: 0B898917
	v_mul_f32_e32 v197, v23, v197                              // 000000006488: 0B8B8B17
	v_mul_f32_e32 v198, v23, v198                              // 00000000648C: 0B8D8D17
	v_mul_f32_e32 v199, v23, v199                              // 000000006490: 0B8F8F17
	v_mul_f32_dpp v196, v12, v196 row_newbcast:0 row_mask:0xf bank_mask:0xf// 000000006494: 0B8988FA FF01500C
	v_mul_f32_dpp v197, v12, v197 row_newbcast:1 row_mask:0xf bank_mask:0xf// 00000000649C: 0B8B8AFA FF01510C
	v_mul_f32_dpp v198, v12, v198 row_newbcast:2 row_mask:0xf bank_mask:0xf// 0000000064A4: 0B8D8CFA FF01520C
	v_mul_f32_dpp v199, v12, v199 row_newbcast:3 row_mask:0xf bank_mask:0xf// 0000000064AC: 0B8F8EFA FF01530C
	v_mul_f32_e32 v196, v18, v196                              // 0000000064B4: 0B898912
	v_mul_f32_e32 v197, v18, v197                              // 0000000064B8: 0B8B8B12
	v_mul_f32_e32 v198, v18, v198                              // 0000000064BC: 0B8D8D12
	v_mul_f32_e32 v199, v18, v199                              // 0000000064C0: 0B8F8F12
	v_cvt_f32_i32_e32 v200, v200                               // 0000000064C4: 7F900BC8
	v_cvt_f32_i32_e32 v201, v201                               // 0000000064C8: 7F920BC9
	v_cvt_f32_i32_e32 v202, v202                               // 0000000064CC: 7F940BCA
	v_cvt_f32_i32_e32 v203, v203                               // 0000000064D0: 7F960BCB
	v_mul_f32_e32 v200, v22, v200                              // 0000000064D4: 0B919116
	v_mul_f32_e32 v201, v22, v201                              // 0000000064D8: 0B939316
	v_mul_f32_e32 v202, v22, v202                              // 0000000064DC: 0B959516
	v_mul_f32_e32 v203, v22, v203                              // 0000000064E0: 0B979716
	v_mul_f32_dpp v200, v12, v200 row_newbcast:4 row_mask:0xf bank_mask:0xf// 0000000064E4: 0B9190FA FF01540C
	v_mul_f32_dpp v201, v12, v201 row_newbcast:5 row_mask:0xf bank_mask:0xf// 0000000064EC: 0B9392FA FF01550C
	v_mul_f32_dpp v202, v12, v202 row_newbcast:6 row_mask:0xf bank_mask:0xf// 0000000064F4: 0B9594FA FF01560C
	v_mul_f32_dpp v203, v12, v203 row_newbcast:7 row_mask:0xf bank_mask:0xf// 0000000064FC: 0B9796FA FF01570C
	v_mul_f32_e32 v200, v17, v200                              // 000000006504: 0B919111
	v_mul_f32_e32 v201, v17, v201                              // 000000006508: 0B939311
	v_mul_f32_e32 v202, v17, v202                              // 00000000650C: 0B959511
	v_mul_f32_e32 v203, v17, v203                              // 000000006510: 0B979711
	v_cvt_f32_i32_e32 v204, v204                               // 000000006514: 7F980BCC
	v_cvt_f32_i32_e32 v205, v205                               // 000000006518: 7F9A0BCD
	v_cvt_f32_i32_e32 v206, v206                               // 00000000651C: 7F9C0BCE
	v_cvt_f32_i32_e32 v207, v207                               // 000000006520: 7F9E0BCF
	v_mul_f32_e32 v204, v23, v204                              // 000000006524: 0B999917
	v_mul_f32_e32 v205, v23, v205                              // 000000006528: 0B9B9B17
	v_mul_f32_e32 v206, v23, v206                              // 00000000652C: 0B9D9D17
	v_mul_f32_e32 v207, v23, v207                              // 000000006530: 0B9F9F17
	v_mul_f32_dpp v204, v12, v204 row_newbcast:4 row_mask:0xf bank_mask:0xf// 000000006534: 0B9998FA FF01540C
	v_mul_f32_dpp v205, v12, v205 row_newbcast:5 row_mask:0xf bank_mask:0xf// 00000000653C: 0B9B9AFA FF01550C
	v_mul_f32_dpp v206, v12, v206 row_newbcast:6 row_mask:0xf bank_mask:0xf// 000000006544: 0B9D9CFA FF01560C
	v_mul_f32_dpp v207, v12, v207 row_newbcast:7 row_mask:0xf bank_mask:0xf// 00000000654C: 0B9F9EFA FF01570C
	v_mul_f32_e32 v204, v18, v204                              // 000000006554: 0B999912
	v_mul_f32_e32 v205, v18, v205                              // 000000006558: 0B9B9B12
	v_mul_f32_e32 v206, v18, v206                              // 00000000655C: 0B9D9D12
	v_mul_f32_e32 v207, v18, v207                              // 000000006560: 0B9F9F12
	v_cvt_f32_i32_e32 v208, v208                               // 000000006564: 7FA00BD0
	v_cvt_f32_i32_e32 v209, v209                               // 000000006568: 7FA20BD1
	v_cvt_f32_i32_e32 v210, v210                               // 00000000656C: 7FA40BD2
	v_cvt_f32_i32_e32 v211, v211                               // 000000006570: 7FA60BD3
	v_mul_f32_e32 v208, v22, v208                              // 000000006574: 0BA1A116
	v_mul_f32_e32 v209, v22, v209                              // 000000006578: 0BA3A316
	v_mul_f32_e32 v210, v22, v210                              // 00000000657C: 0BA5A516
	v_mul_f32_e32 v211, v22, v211                              // 000000006580: 0BA7A716
	v_mul_f32_dpp v208, v12, v208 row_newbcast:8 row_mask:0xf bank_mask:0xf// 000000006584: 0BA1A0FA FF01580C
	v_mul_f32_dpp v209, v12, v209 row_newbcast:9 row_mask:0xf bank_mask:0xf// 00000000658C: 0BA3A2FA FF01590C
	v_mul_f32_dpp v210, v12, v210 row_newbcast:10 row_mask:0xf bank_mask:0xf// 000000006594: 0BA5A4FA FF015A0C
	v_mul_f32_dpp v211, v12, v211 row_newbcast:11 row_mask:0xf bank_mask:0xf// 00000000659C: 0BA7A6FA FF015B0C
	v_mul_f32_e32 v208, v17, v208                              // 0000000065A4: 0BA1A111
	v_mul_f32_e32 v209, v17, v209                              // 0000000065A8: 0BA3A311
	v_mul_f32_e32 v210, v17, v210                              // 0000000065AC: 0BA5A511
	v_mul_f32_e32 v211, v17, v211                              // 0000000065B0: 0BA7A711
	v_cvt_f32_i32_e32 v212, v212                               // 0000000065B4: 7FA80BD4
	v_cvt_f32_i32_e32 v213, v213                               // 0000000065B8: 7FAA0BD5
	v_cvt_f32_i32_e32 v214, v214                               // 0000000065BC: 7FAC0BD6
	v_cvt_f32_i32_e32 v215, v215                               // 0000000065C0: 7FAE0BD7
	v_mul_f32_e32 v212, v23, v212                              // 0000000065C4: 0BA9A917
	v_mul_f32_e32 v213, v23, v213                              // 0000000065C8: 0BABAB17
	v_mul_f32_e32 v214, v23, v214                              // 0000000065CC: 0BADAD17
	v_mul_f32_e32 v215, v23, v215                              // 0000000065D0: 0BAFAF17
	v_mul_f32_dpp v212, v12, v212 row_newbcast:8 row_mask:0xf bank_mask:0xf// 0000000065D4: 0BA9A8FA FF01580C
	v_mul_f32_dpp v213, v12, v213 row_newbcast:9 row_mask:0xf bank_mask:0xf// 0000000065DC: 0BABAAFA FF01590C
	v_mul_f32_dpp v214, v12, v214 row_newbcast:10 row_mask:0xf bank_mask:0xf// 0000000065E4: 0BADACFA FF015A0C
	v_mul_f32_dpp v215, v12, v215 row_newbcast:11 row_mask:0xf bank_mask:0xf// 0000000065EC: 0BAFAEFA FF015B0C
	v_mul_f32_e32 v212, v18, v212                              // 0000000065F4: 0BA9A912
	v_mul_f32_e32 v213, v18, v213                              // 0000000065F8: 0BABAB12
	v_mul_f32_e32 v214, v18, v214                              // 0000000065FC: 0BADAD12
	v_mul_f32_e32 v215, v18, v215                              // 000000006600: 0BAFAF12
	v_cvt_f32_i32_e32 v216, v216                               // 000000006604: 7FB00BD8
	v_cvt_f32_i32_e32 v217, v217                               // 000000006608: 7FB20BD9
	v_cvt_f32_i32_e32 v218, v218                               // 00000000660C: 7FB40BDA
	v_cvt_f32_i32_e32 v219, v219                               // 000000006610: 7FB60BDB
	v_mul_f32_e32 v216, v22, v216                              // 000000006614: 0BB1B116
	v_mul_f32_e32 v217, v22, v217                              // 000000006618: 0BB3B316
	v_mul_f32_e32 v218, v22, v218                              // 00000000661C: 0BB5B516
	v_mul_f32_e32 v219, v22, v219                              // 000000006620: 0BB7B716
	v_mul_f32_dpp v216, v12, v216 row_newbcast:12 row_mask:0xf bank_mask:0xf// 000000006624: 0BB1B0FA FF015C0C
	v_mul_f32_dpp v217, v12, v217 row_newbcast:13 row_mask:0xf bank_mask:0xf// 00000000662C: 0BB3B2FA FF015D0C
	v_mul_f32_dpp v218, v12, v218 row_newbcast:14 row_mask:0xf bank_mask:0xf// 000000006634: 0BB5B4FA FF015E0C
	v_mul_f32_dpp v219, v12, v219 row_newbcast:15 row_mask:0xf bank_mask:0xf// 00000000663C: 0BB7B6FA FF015F0C
	v_mul_f32_e32 v216, v17, v216                              // 000000006644: 0BB1B111
	v_mul_f32_e32 v217, v17, v217                              // 000000006648: 0BB3B311
	v_mul_f32_e32 v218, v17, v218                              // 00000000664C: 0BB5B511
	v_mul_f32_e32 v219, v17, v219                              // 000000006650: 0BB7B711
	v_cvt_f32_i32_e32 v220, v220                               // 000000006654: 7FB80BDC
	v_cvt_f32_i32_e32 v221, v221                               // 000000006658: 7FBA0BDD
	v_cvt_f32_i32_e32 v222, v222                               // 00000000665C: 7FBC0BDE
	v_cvt_f32_i32_e32 v223, v223                               // 000000006660: 7FBE0BDF
	v_mul_f32_e32 v220, v23, v220                              // 000000006664: 0BB9B917
	v_mul_f32_e32 v221, v23, v221                              // 000000006668: 0BBBBB17
	v_mul_f32_e32 v222, v23, v222                              // 00000000666C: 0BBDBD17
	v_mul_f32_e32 v223, v23, v223                              // 000000006670: 0BBFBF17
	v_mul_f32_dpp v220, v12, v220 row_newbcast:12 row_mask:0xf bank_mask:0xf// 000000006674: 0BB9B8FA FF015C0C
	v_mul_f32_dpp v221, v12, v221 row_newbcast:13 row_mask:0xf bank_mask:0xf// 00000000667C: 0BBBBAFA FF015D0C
	v_mul_f32_dpp v222, v12, v222 row_newbcast:14 row_mask:0xf bank_mask:0xf// 000000006684: 0BBDBCFA FF015E0C
	v_mul_f32_dpp v223, v12, v223 row_newbcast:15 row_mask:0xf bank_mask:0xf// 00000000668C: 0BBFBEFA FF015F0C
	v_mul_f32_e32 v220, v18, v220                              // 000000006694: 0BB9B912
	v_mul_f32_e32 v221, v18, v221                              // 000000006698: 0BBBBB12
	v_mul_f32_e32 v222, v18, v222                              // 00000000669C: 0BBDBD12
	v_mul_f32_e32 v223, v18, v223                              // 0000000066A0: 0BBFBF12
	v_cmp_u_f32_e64 s[48:49], v192, v192                       // 0000000066A4: D0480030 000381C0
	v_add3_u32 v40, v192, v43, 1                               // 0000000066AC: D1FF0028 020657C0
	v_cndmask_b32_e64 v46, v40, v42, s[48:49]                  // 0000000066B4: D100002E 00C25528
	v_cmp_u_f32_e64 s[48:49], v193, v193                       // 0000000066BC: D0480030 000383C1
	v_add3_u32 v40, v193, v43, 1                               // 0000000066C4: D1FF0028 020657C1
	v_cndmask_b32_e64 v47, v40, v42, s[48:49]                  // 0000000066CC: D100002F 00C25528
	v_perm_b32 v192, v47, v46, s52                             // 0000000066D4: D1ED00C0 00D25D2F
	v_cmp_u_f32_e64 s[48:49], v194, v194                       // 0000000066DC: D0480030 000385C2
	v_add3_u32 v40, v194, v43, 1                               // 0000000066E4: D1FF0028 020657C2
	v_cndmask_b32_e64 v46, v40, v42, s[48:49]                  // 0000000066EC: D100002E 00C25528
	v_cmp_u_f32_e64 s[48:49], v195, v195                       // 0000000066F4: D0480030 000387C3
	v_add3_u32 v40, v195, v43, 1                               // 0000000066FC: D1FF0028 020657C3
	v_cndmask_b32_e64 v47, v40, v42, s[48:49]                  // 000000006704: D100002F 00C25528
	v_perm_b32 v193, v47, v46, s52                             // 00000000670C: D1ED00C1 00D25D2F
	v_cmp_u_f32_e64 s[48:49], v196, v196                       // 000000006714: D0480030 000389C4
	v_add3_u32 v40, v196, v43, 1                               // 00000000671C: D1FF0028 020657C4
	v_cndmask_b32_e64 v46, v40, v42, s[48:49]                  // 000000006724: D100002E 00C25528
	v_cmp_u_f32_e64 s[48:49], v197, v197                       // 00000000672C: D0480030 00038BC5
	v_add3_u32 v40, v197, v43, 1                               // 000000006734: D1FF0028 020657C5
	v_cndmask_b32_e64 v47, v40, v42, s[48:49]                  // 00000000673C: D100002F 00C25528
	v_perm_b32 v194, v47, v46, s52                             // 000000006744: D1ED00C2 00D25D2F
	v_cmp_u_f32_e64 s[48:49], v198, v198                       // 00000000674C: D0480030 00038DC6
	v_add3_u32 v40, v198, v43, 1                               // 000000006754: D1FF0028 020657C6
	v_cndmask_b32_e64 v46, v40, v42, s[48:49]                  // 00000000675C: D100002E 00C25528
	v_cmp_u_f32_e64 s[48:49], v199, v199                       // 000000006764: D0480030 00038FC7
	v_add3_u32 v40, v199, v43, 1                               // 00000000676C: D1FF0028 020657C7
	v_cndmask_b32_e64 v47, v40, v42, s[48:49]                  // 000000006774: D100002F 00C25528
	v_perm_b32 v195, v47, v46, s52                             // 00000000677C: D1ED00C3 00D25D2F
	v_cmp_u_f32_e64 s[48:49], v200, v200                       // 000000006784: D0480030 000391C8
	v_add3_u32 v40, v200, v43, 1                               // 00000000678C: D1FF0028 020657C8
	v_cndmask_b32_e64 v46, v40, v42, s[48:49]                  // 000000006794: D100002E 00C25528
	v_cmp_u_f32_e64 s[48:49], v201, v201                       // 00000000679C: D0480030 000393C9
	v_add3_u32 v40, v201, v43, 1                               // 0000000067A4: D1FF0028 020657C9
	v_cndmask_b32_e64 v47, v40, v42, s[48:49]                  // 0000000067AC: D100002F 00C25528
	v_perm_b32 v196, v47, v46, s52                             // 0000000067B4: D1ED00C4 00D25D2F
	v_cmp_u_f32_e64 s[48:49], v202, v202                       // 0000000067BC: D0480030 000395CA
	v_add3_u32 v40, v202, v43, 1                               // 0000000067C4: D1FF0028 020657CA
	v_cndmask_b32_e64 v46, v40, v42, s[48:49]                  // 0000000067CC: D100002E 00C25528
	v_cmp_u_f32_e64 s[48:49], v203, v203                       // 0000000067D4: D0480030 000397CB
	v_add3_u32 v40, v203, v43, 1                               // 0000000067DC: D1FF0028 020657CB
	v_cndmask_b32_e64 v47, v40, v42, s[48:49]                  // 0000000067E4: D100002F 00C25528
	v_perm_b32 v197, v47, v46, s52                             // 0000000067EC: D1ED00C5 00D25D2F
	v_cmp_u_f32_e64 s[48:49], v204, v204                       // 0000000067F4: D0480030 000399CC
	v_add3_u32 v40, v204, v43, 1                               // 0000000067FC: D1FF0028 020657CC
	v_cndmask_b32_e64 v46, v40, v42, s[48:49]                  // 000000006804: D100002E 00C25528
	v_cmp_u_f32_e64 s[48:49], v205, v205                       // 00000000680C: D0480030 00039BCD
	v_add3_u32 v40, v205, v43, 1                               // 000000006814: D1FF0028 020657CD
	v_cndmask_b32_e64 v47, v40, v42, s[48:49]                  // 00000000681C: D100002F 00C25528
	v_perm_b32 v198, v47, v46, s52                             // 000000006824: D1ED00C6 00D25D2F
	v_cmp_u_f32_e64 s[48:49], v206, v206                       // 00000000682C: D0480030 00039DCE
	v_add3_u32 v40, v206, v43, 1                               // 000000006834: D1FF0028 020657CE
	v_cndmask_b32_e64 v46, v40, v42, s[48:49]                  // 00000000683C: D100002E 00C25528
	v_cmp_u_f32_e64 s[48:49], v207, v207                       // 000000006844: D0480030 00039FCF
	v_add3_u32 v40, v207, v43, 1                               // 00000000684C: D1FF0028 020657CF
	v_cndmask_b32_e64 v47, v40, v42, s[48:49]                  // 000000006854: D100002F 00C25528
	v_perm_b32 v199, v47, v46, s52                             // 00000000685C: D1ED00C7 00D25D2F
	v_cmp_u_f32_e64 s[48:49], v208, v208                       // 000000006864: D0480030 0003A1D0
	v_add3_u32 v40, v208, v43, 1                               // 00000000686C: D1FF0028 020657D0
	v_cndmask_b32_e64 v46, v40, v42, s[48:49]                  // 000000006874: D100002E 00C25528
	v_cmp_u_f32_e64 s[48:49], v209, v209                       // 00000000687C: D0480030 0003A3D1
	v_add3_u32 v40, v209, v43, 1                               // 000000006884: D1FF0028 020657D1
	v_cndmask_b32_e64 v47, v40, v42, s[48:49]                  // 00000000688C: D100002F 00C25528
	v_perm_b32 v200, v47, v46, s52                             // 000000006894: D1ED00C8 00D25D2F
	v_cmp_u_f32_e64 s[48:49], v210, v210                       // 00000000689C: D0480030 0003A5D2
	v_add3_u32 v40, v210, v43, 1                               // 0000000068A4: D1FF0028 020657D2
	v_cndmask_b32_e64 v46, v40, v42, s[48:49]                  // 0000000068AC: D100002E 00C25528
	v_cmp_u_f32_e64 s[48:49], v211, v211                       // 0000000068B4: D0480030 0003A7D3
	v_add3_u32 v40, v211, v43, 1                               // 0000000068BC: D1FF0028 020657D3
	v_cndmask_b32_e64 v47, v40, v42, s[48:49]                  // 0000000068C4: D100002F 00C25528
	v_perm_b32 v201, v47, v46, s52                             // 0000000068CC: D1ED00C9 00D25D2F
	v_cmp_u_f32_e64 s[48:49], v212, v212                       // 0000000068D4: D0480030 0003A9D4
	v_add3_u32 v40, v212, v43, 1                               // 0000000068DC: D1FF0028 020657D4
	v_cndmask_b32_e64 v46, v40, v42, s[48:49]                  // 0000000068E4: D100002E 00C25528
	v_cmp_u_f32_e64 s[48:49], v213, v213                       // 0000000068EC: D0480030 0003ABD5
	v_add3_u32 v40, v213, v43, 1                               // 0000000068F4: D1FF0028 020657D5
	v_cndmask_b32_e64 v47, v40, v42, s[48:49]                  // 0000000068FC: D100002F 00C25528
	v_perm_b32 v202, v47, v46, s52                             // 000000006904: D1ED00CA 00D25D2F
	v_cmp_u_f32_e64 s[48:49], v214, v214                       // 00000000690C: D0480030 0003ADD6
	v_add3_u32 v40, v214, v43, 1                               // 000000006914: D1FF0028 020657D6
	v_cndmask_b32_e64 v46, v40, v42, s[48:49]                  // 00000000691C: D100002E 00C25528
	v_cmp_u_f32_e64 s[48:49], v215, v215                       // 000000006924: D0480030 0003AFD7
	v_add3_u32 v40, v215, v43, 1                               // 00000000692C: D1FF0028 020657D7
	v_cndmask_b32_e64 v47, v40, v42, s[48:49]                  // 000000006934: D100002F 00C25528
	v_perm_b32 v203, v47, v46, s52                             // 00000000693C: D1ED00CB 00D25D2F
	v_cmp_u_f32_e64 s[48:49], v216, v216                       // 000000006944: D0480030 0003B1D8
	v_add3_u32 v40, v216, v43, 1                               // 00000000694C: D1FF0028 020657D8
	v_cndmask_b32_e64 v46, v40, v42, s[48:49]                  // 000000006954: D100002E 00C25528
	v_cmp_u_f32_e64 s[48:49], v217, v217                       // 00000000695C: D0480030 0003B3D9
	v_add3_u32 v40, v217, v43, 1                               // 000000006964: D1FF0028 020657D9
	v_cndmask_b32_e64 v47, v40, v42, s[48:49]                  // 00000000696C: D100002F 00C25528
	v_perm_b32 v204, v47, v46, s52                             // 000000006974: D1ED00CC 00D25D2F
	v_cmp_u_f32_e64 s[48:49], v218, v218                       // 00000000697C: D0480030 0003B5DA
	v_add3_u32 v40, v218, v43, 1                               // 000000006984: D1FF0028 020657DA
	v_cndmask_b32_e64 v46, v40, v42, s[48:49]                  // 00000000698C: D100002E 00C25528
	v_cmp_u_f32_e64 s[48:49], v219, v219                       // 000000006994: D0480030 0003B7DB
	v_add3_u32 v40, v219, v43, 1                               // 00000000699C: D1FF0028 020657DB
	v_cndmask_b32_e64 v47, v40, v42, s[48:49]                  // 0000000069A4: D100002F 00C25528
	v_perm_b32 v205, v47, v46, s52                             // 0000000069AC: D1ED00CD 00D25D2F
	v_cmp_u_f32_e64 s[48:49], v220, v220                       // 0000000069B4: D0480030 0003B9DC
	v_add3_u32 v40, v220, v43, 1                               // 0000000069BC: D1FF0028 020657DC
	v_cndmask_b32_e64 v46, v40, v42, s[48:49]                  // 0000000069C4: D100002E 00C25528
	v_cmp_u_f32_e64 s[48:49], v221, v221                       // 0000000069CC: D0480030 0003BBDD
	v_add3_u32 v40, v221, v43, 1                               // 0000000069D4: D1FF0028 020657DD
	v_cndmask_b32_e64 v47, v40, v42, s[48:49]                  // 0000000069DC: D100002F 00C25528
	v_perm_b32 v206, v47, v46, s52                             // 0000000069E4: D1ED00CE 00D25D2F
	v_cmp_u_f32_e64 s[48:49], v222, v222                       // 0000000069EC: D0480030 0003BDDE
	v_add3_u32 v40, v222, v43, 1                               // 0000000069F4: D1FF0028 020657DE
	v_cndmask_b32_e64 v46, v40, v42, s[48:49]                  // 0000000069FC: D100002E 00C25528
	v_cmp_u_f32_e64 s[48:49], v223, v223                       // 000000006A04: D0480030 0003BFDF
	v_add3_u32 v40, v223, v43, 1                               // 000000006A0C: D1FF0028 020657DF
	v_cndmask_b32_e64 v47, v40, v42, s[48:49]                  // 000000006A14: D100002F 00C25528
	v_perm_b32 v207, v47, v46, s52                             // 000000006A1C: D1ED00CF 00D25D2F
	ds_write_b64 v3, v[192:193] offset:26880                   // 000000006A24: D89A6900 0000C003
	ds_write_b64 v3, v[194:195] offset:35584                   // 000000006A2C: D89A8B00 0000C203
	ds_write_b64 v3, v[196:197] offset:29056                   // 000000006A34: D89A7180 0000C403
	ds_write_b64 v3, v[198:199] offset:37760                   // 000000006A3C: D89A9380 0000C603
	ds_write_b64 v3, v[200:201] offset:31232                   // 000000006A44: D89A7A00 0000C803
	ds_write_b64 v3, v[202:203] offset:39936                   // 000000006A4C: D89A9C00 0000CA03
	ds_write_b64 v3, v[204:205] offset:33408                   // 000000006A54: D89A8280 0000CC03
	ds_write_b64 v3, v[206:207] offset:42112                   // 000000006A5C: D89AA480 0000CE03
	s_waitcnt lgkmcnt(0)                                       // 000000006A64: BF8CC07F
	s_barrier                                                  // 000000006A68: BF8A0000
	ds_read_b32 v64, v4 offset:26880                           // 000000006A6C: D86C6900 40000004
	ds_read_b32 v65, v4 offset:31232                           // 000000006A74: D86C7A00 41000004
	ds_read_b32 v66, v4 offset:26912                           // 000000006A7C: D86C6920 42000004
	ds_read_b32 v67, v4 offset:31264                           // 000000006A84: D86C7A20 43000004
	ds_read_b32 v68, v4 offset:26944                           // 000000006A8C: D86C6940 44000004
	ds_read_b32 v69, v4 offset:31296                           // 000000006A94: D86C7A40 45000004
	ds_read_b32 v70, v4 offset:26976                           // 000000006A9C: D86C6960 46000004
	ds_read_b32 v71, v4 offset:31328                           // 000000006AA4: D86C7A60 47000004
	ds_read_b32 v72, v4 offset:35584                           // 000000006AAC: D86C8B00 48000004
	ds_read_b32 v73, v4 offset:39936                           // 000000006AB4: D86C9C00 49000004
	ds_read_b32 v74, v4 offset:35616                           // 000000006ABC: D86C8B20 4A000004
	ds_read_b32 v75, v4 offset:39968                           // 000000006AC4: D86C9C20 4B000004
	ds_read_b32 v76, v4 offset:35648                           // 000000006ACC: D86C8B40 4C000004
	ds_read_b32 v77, v4 offset:40000                           // 000000006AD4: D86C9C40 4D000004
	ds_read_b32 v78, v4 offset:35680                           // 000000006ADC: D86C8B60 4E000004
	ds_read_b32 v79, v4 offset:40032                           // 000000006AE4: D86C9C60 4F000004
	s_waitcnt lgkmcnt(0)                                       // 000000006AEC: BF8CC07F
	s_mov_b64 exec, s[20:21]                                   // 000000006AF0: BEFE0114
	global_atomic_pk_add_bf16 v80, v64, s[8:9]                 // 000000006AF4: DD488000 00084050
	s_mov_b64 exec, s[36:37]                                   // 000000006AFC: BEFE0124
	s_mov_b64 exec, s[20:21]                                   // 000000006B00: BEFE0114
	global_atomic_pk_add_bf16 v80, v65, s[8:9] offset:256      // 000000006B04: DD488100 00084150
	s_mov_b64 exec, s[36:37]                                   // 000000006B0C: BEFE0124
	s_mov_b64 exec, s[22:23]                                   // 000000006B10: BEFE0116
	global_atomic_pk_add_bf16 v82, v66, s[8:9]                 // 000000006B14: DD488000 00084252
	s_mov_b64 exec, s[36:37]                                   // 000000006B1C: BEFE0124
	s_mov_b64 exec, s[22:23]                                   // 000000006B20: BEFE0116
	global_atomic_pk_add_bf16 v82, v67, s[8:9] offset:256      // 000000006B24: DD488100 00084352
	s_mov_b64 exec, s[36:37]                                   // 000000006B2C: BEFE0124
	s_mov_b64 exec, s[24:25]                                   // 000000006B30: BEFE0118
	global_atomic_pk_add_bf16 v84, v68, s[8:9]                 // 000000006B34: DD488000 00084454
	s_mov_b64 exec, s[36:37]                                   // 000000006B3C: BEFE0124
	s_mov_b64 exec, s[24:25]                                   // 000000006B40: BEFE0118
	global_atomic_pk_add_bf16 v84, v69, s[8:9] offset:256      // 000000006B44: DD488100 00084554
	s_mov_b64 exec, s[36:37]                                   // 000000006B4C: BEFE0124
	s_mov_b64 exec, s[26:27]                                   // 000000006B50: BEFE011A
	global_atomic_pk_add_bf16 v86, v70, s[8:9]                 // 000000006B54: DD488000 00084656
	s_mov_b64 exec, s[36:37]                                   // 000000006B5C: BEFE0124
	s_mov_b64 exec, s[26:27]                                   // 000000006B60: BEFE011A
	global_atomic_pk_add_bf16 v86, v71, s[8:9] offset:256      // 000000006B64: DD488100 00084756
	s_mov_b64 exec, s[36:37]                                   // 000000006B6C: BEFE0124
	s_mov_b64 exec, s[28:29]                                   // 000000006B70: BEFE011C
	global_atomic_pk_add_bf16 v88, v72, s[8:9]                 // 000000006B74: DD488000 00084858
	s_mov_b64 exec, s[36:37]                                   // 000000006B7C: BEFE0124
	s_mov_b64 exec, s[28:29]                                   // 000000006B80: BEFE011C
	global_atomic_pk_add_bf16 v88, v73, s[8:9] offset:256      // 000000006B84: DD488100 00084958
	s_mov_b64 exec, s[36:37]                                   // 000000006B8C: BEFE0124
	s_mov_b64 exec, s[30:31]                                   // 000000006B90: BEFE011E
	global_atomic_pk_add_bf16 v90, v74, s[8:9]                 // 000000006B94: DD488000 00084A5A
	s_mov_b64 exec, s[36:37]                                   // 000000006B9C: BEFE0124
	s_mov_b64 exec, s[30:31]                                   // 000000006BA0: BEFE011E
	global_atomic_pk_add_bf16 v90, v75, s[8:9] offset:256      // 000000006BA4: DD488100 00084B5A
	s_mov_b64 exec, s[36:37]                                   // 000000006BAC: BEFE0124
	s_mov_b64 exec, s[32:33]                                   // 000000006BB0: BEFE0120
	global_atomic_pk_add_bf16 v92, v76, s[8:9]                 // 000000006BB4: DD488000 00084C5C
	s_mov_b64 exec, s[36:37]                                   // 000000006BBC: BEFE0124
	s_mov_b64 exec, s[32:33]                                   // 000000006BC0: BEFE0120
	global_atomic_pk_add_bf16 v92, v77, s[8:9] offset:256      // 000000006BC4: DD488100 00084D5C
	s_mov_b64 exec, s[36:37]                                   // 000000006BCC: BEFE0124
	s_mov_b64 exec, s[34:35]                                   // 000000006BD0: BEFE0122
	global_atomic_pk_add_bf16 v94, v78, s[8:9]                 // 000000006BD4: DD488000 00084E5E
	s_mov_b64 exec, s[36:37]                                   // 000000006BDC: BEFE0124
	s_mov_b64 exec, s[34:35]                                   // 000000006BE0: BEFE0122
	global_atomic_pk_add_bf16 v94, v79, s[8:9] offset:256      // 000000006BE4: DD488100 00084F5E
	s_mov_b64 exec, s[36:37]                                   // 000000006BEC: BEFE0124
	s_add_u32 s8, s59, s8                                      // 000000006BF0: 8008083B
	s_addc_u32 s9, 0, s9                                       // 000000006BF4: 82090980
	s_addk_i32 s80, 0x100                                      // 000000006BF8: B7500100
	s_cmp_lt_i32 s80, s81                                      // 000000006BFC: BF045150
	s_cbranch_scc0 label_0F82                                  // 000000006C00: BF840001
	s_branch label_0A23                                        // 000000006C04: BF82FAA1

0000000000006c08 <label_0F82>:
	s_nop 0                                                    // 000000006C08: BF800000
	s_nop 0                                                    // 000000006C0C: BF800000
	s_branch label_1C47                                        // 000000006C10: BF820CC2

0000000000006c14 <label_0F85>:
	s_waitcnt vmcnt(8) lgkmcnt(0)                              // 000000006C14: BF8C0078
	s_barrier                                                  // 000000006C18: BF8A0000
	v_mfma_i32_16x16x32_i8 v[128:131], a[0:1], v[160:161], v[128:131]// 000000006C1C: D3D70080 0E034100
	buffer_load_dwordx4 a[64:67], v32, s[92:95], 0 offen       // 000000006C24: E05C1000 80974020
	v_mfma_i32_16x16x32_i8 v[128:131], a[2:3], v[162:163], v[128:131]// 000000006C2C: D3D70080 0E034502
	v_mfma_i32_16x16x32_i8 v[128:131], a[4:5], v[164:165], v[128:131]// 000000006C34: D3D70080 0E034904
	buffer_load_dword v24, s[20:23], 0 offen lds               // 000000006C3C: E0511000 80050018
	s_add_u32 m0, 0x100, s51                                   // 000000006C44: 807C33FF 00000100
	v_mfma_i32_16x16x32_i8 v[128:131], a[6:7], v[166:167], v[128:131]// 000000006C4C: D3D70080 0E034D06
	v_mfma_i32_16x16x32_i8 v[128:131], a[8:9], v[168:169], v[128:131]// 000000006C54: D3D70080 0E035108
	buffer_load_dwordx4 a[68:71], v32, s[92:95], 0 offen offset:1024// 000000006C5C: E05C1400 80974420
	v_mfma_i32_16x16x32_i8 v[128:131], a[10:11], v[170:171], v[128:131]// 000000006C64: D3D70080 0E03550A
	v_mfma_i32_16x16x32_i8 v[128:131], a[12:13], v[172:173], v[128:131]// 000000006C6C: D3D70080 0E03590C
	buffer_load_dword v25, s[20:23], 0 offen lds               // 000000006C74: E0511000 80050019
	s_add_u32 m0, 0x200, s51                                   // 000000006C7C: 807C33FF 00000200
	v_mfma_i32_16x16x32_i8 v[128:131], a[14:15], v[174:175], v[128:131]// 000000006C84: D3D70080 0E035D0E
	v_mfma_i32_16x16x32_i8 v[132:135], a[0:1], v[176:177], v[132:135]// 000000006C8C: D3D70084 0E136100
	buffer_load_dwordx4 a[72:75], v32, s[92:95], 0 offen offset:2048// 000000006C94: E05C1800 80974820
	v_mfma_i32_16x16x32_i8 v[132:135], a[2:3], v[178:179], v[132:135]// 000000006C9C: D3D70084 0E136502
	v_mfma_i32_16x16x32_i8 v[132:135], a[4:5], v[180:181], v[132:135]// 000000006CA4: D3D70084 0E136904
	buffer_load_dword v26, s[20:23], 0 offen lds               // 000000006CAC: E0511000 8005001A
	s_add_u32 m0, 0x300, s51                                   // 000000006CB4: 807C33FF 00000300
	v_mfma_i32_16x16x32_i8 v[132:135], a[6:7], v[182:183], v[132:135]// 000000006CBC: D3D70084 0E136D06
	v_mfma_i32_16x16x32_i8 v[132:135], a[8:9], v[184:185], v[132:135]// 000000006CC4: D3D70084 0E137108
	buffer_load_dwordx4 a[76:79], v32, s[92:95], 0 offen offset:3072// 000000006CCC: E05C1C00 80974C20
	v_mfma_i32_16x16x32_i8 v[132:135], a[10:11], v[186:187], v[132:135]// 000000006CD4: D3D70084 0E13750A
	v_mfma_i32_16x16x32_i8 v[132:135], a[12:13], v[188:189], v[132:135]// 000000006CDC: D3D70084 0E13790C
	buffer_load_dword v27, s[20:23], 0 offen lds               // 000000006CE4: E0511000 8005001B
	s_add_u32 m0, 0x400, s51                                   // 000000006CEC: 807C33FF 00000400
	v_mfma_i32_16x16x32_i8 v[132:135], a[14:15], v[190:191], v[132:135]// 000000006CF4: D3D70084 0E137D0E
	v_mfma_i32_16x16x32_i8 v[136:139], a[16:17], v[160:161], v[136:139]// 000000006CFC: D3D70088 0E234110
	buffer_load_dwordx4 a[80:83], v33, s[92:95], 0 offen       // 000000006D04: E05C1000 80975021
	v_mfma_i32_16x16x32_i8 v[136:139], a[18:19], v[162:163], v[136:139]// 000000006D0C: D3D70088 0E234512
	v_mfma_i32_16x16x32_i8 v[136:139], a[20:21], v[164:165], v[136:139]// 000000006D14: D3D70088 0E234914
	buffer_load_dword v28, s[20:23], 0 offen lds               // 000000006D1C: E0511000 8005001C
	s_add_u32 m0, 0x500, s51                                   // 000000006D24: 807C33FF 00000500
	v_mfma_i32_16x16x32_i8 v[136:139], a[22:23], v[166:167], v[136:139]// 000000006D2C: D3D70088 0E234D16
	v_mfma_i32_16x16x32_i8 v[136:139], a[24:25], v[168:169], v[136:139]// 000000006D34: D3D70088 0E235118
	buffer_load_dwordx4 a[84:87], v33, s[92:95], 0 offen offset:1024// 000000006D3C: E05C1400 80975421
	v_mfma_i32_16x16x32_i8 v[136:139], a[26:27], v[170:171], v[136:139]// 000000006D44: D3D70088 0E23551A
	v_mfma_i32_16x16x32_i8 v[136:139], a[28:29], v[172:173], v[136:139]// 000000006D4C: D3D70088 0E23591C
	buffer_load_dword v29, s[20:23], 0 offen lds               // 000000006D54: E0511000 8005001D
	s_add_u32 m0, 0x600, s51                                   // 000000006D5C: 807C33FF 00000600
	v_mfma_i32_16x16x32_i8 v[136:139], a[30:31], v[174:175], v[136:139]// 000000006D64: D3D70088 0E235D1E
	v_mfma_i32_16x16x32_i8 v[140:143], a[16:17], v[176:177], v[140:143]// 000000006D6C: D3D7008C 0E336110
	buffer_load_dwordx4 a[88:91], v33, s[92:95], 0 offen offset:2048// 000000006D74: E05C1800 80975821
	v_mfma_i32_16x16x32_i8 v[140:143], a[18:19], v[178:179], v[140:143]// 000000006D7C: D3D7008C 0E336512
	v_mfma_i32_16x16x32_i8 v[140:143], a[20:21], v[180:181], v[140:143]// 000000006D84: D3D7008C 0E336914
	buffer_load_dword v30, s[20:23], 0 offen lds               // 000000006D8C: E0511000 8005001E
	s_add_u32 m0, 0x700, s51                                   // 000000006D94: 807C33FF 00000700
	v_mfma_i32_16x16x32_i8 v[140:143], a[22:23], v[182:183], v[140:143]// 000000006D9C: D3D7008C 0E336D16
	v_mfma_i32_16x16x32_i8 v[140:143], a[24:25], v[184:185], v[140:143]// 000000006DA4: D3D7008C 0E337118
	buffer_load_dwordx4 a[92:95], v33, s[92:95], 0 offen offset:3072// 000000006DAC: E05C1C00 80975C21
	v_mfma_i32_16x16x32_i8 v[140:143], a[26:27], v[186:187], v[140:143]// 000000006DB4: D3D7008C 0E33751A
	v_mfma_i32_16x16x32_i8 v[140:143], a[28:29], v[188:189], v[140:143]// 000000006DBC: D3D7008C 0E33791C
	buffer_load_dword v31, s[20:23], 0 offen lds               // 000000006DC4: E0511000 8005001F
	s_add_u32 m0, 0, s50                                       // 000000006DCC: 807C3280
	v_mfma_i32_16x16x32_i8 v[140:143], a[30:31], v[190:191], v[140:143]// 000000006DD0: D3D7008C 0E337D1E
	s_waitcnt vmcnt(20)                                        // 000000006DD8: BF8C4F74
	v_mfma_i32_16x16x32_i8 v[144:147], a[32:33], v[160:161], v[144:147]// 000000006DDC: D3D70090 0E434120
	buffer_load_dwordx4 a[96:99], v34, s[92:95], 0 offen       // 000000006DE4: E05C1000 80976022
	v_mfma_i32_16x16x32_i8 v[144:147], a[34:35], v[162:163], v[144:147]// 000000006DEC: D3D70090 0E434522
	v_mfma_i32_16x16x32_i8 v[144:147], a[36:37], v[164:165], v[144:147]// 000000006DF4: D3D70090 0E434924
	v_mfma_i32_16x16x32_i8 v[144:147], a[38:39], v[166:167], v[144:147]// 000000006DFC: D3D70090 0E434D26
	v_mfma_i32_16x16x32_i8 v[144:147], a[40:41], v[168:169], v[144:147]// 000000006E04: D3D70090 0E435128
	buffer_load_dwordx4 a[100:103], v34, s[92:95], 0 offen offset:1024// 000000006E0C: E05C1400 80976422
	v_mfma_i32_16x16x32_i8 v[144:147], a[42:43], v[170:171], v[144:147]// 000000006E14: D3D70090 0E43552A
	v_mfma_i32_16x16x32_i8 v[144:147], a[44:45], v[172:173], v[144:147]// 000000006E1C: D3D70090 0E43592C
	v_mfma_i32_16x16x32_i8 v[144:147], a[46:47], v[174:175], v[144:147]// 000000006E24: D3D70090 0E435D2E
	v_mfma_i32_16x16x32_i8 v[148:151], a[32:33], v[176:177], v[148:151]// 000000006E2C: D3D70094 0E536120
	buffer_load_dwordx4 a[104:107], v34, s[92:95], 0 offen offset:2048// 000000006E34: E05C1800 80976822
	v_mfma_i32_16x16x32_i8 v[148:151], a[34:35], v[178:179], v[148:151]// 000000006E3C: D3D70094 0E536522
	v_mfma_i32_16x16x32_i8 v[148:151], a[36:37], v[180:181], v[148:151]// 000000006E44: D3D70094 0E536924
	v_mfma_i32_16x16x32_i8 v[148:151], a[38:39], v[182:183], v[148:151]// 000000006E4C: D3D70094 0E536D26
	v_mfma_i32_16x16x32_i8 v[148:151], a[40:41], v[184:185], v[148:151]// 000000006E54: D3D70094 0E537128
	buffer_load_dwordx4 a[108:111], v34, s[92:95], 0 offen offset:3072// 000000006E5C: E05C1C00 80976C22
	v_mfma_i32_16x16x32_i8 v[148:151], a[42:43], v[186:187], v[148:151]// 000000006E64: D3D70094 0E53752A
	v_mfma_i32_16x16x32_i8 v[148:151], a[44:45], v[188:189], v[148:151]// 000000006E6C: D3D70094 0E53792C
	v_mfma_i32_16x16x32_i8 v[148:151], a[46:47], v[190:191], v[148:151]// 000000006E74: D3D70094 0E537D2E
	s_waitcnt vmcnt(20)                                        // 000000006E7C: BF8C4F74
	v_mfma_i32_16x16x32_i8 v[152:155], a[48:49], v[160:161], v[152:155]// 000000006E80: D3D70098 0E634130
	buffer_load_dwordx4 a[112:115], v35, s[92:95], 0 offen     // 000000006E88: E05C1000 80977023
	v_mfma_i32_16x16x32_i8 v[152:155], a[50:51], v[162:163], v[152:155]// 000000006E90: D3D70098 0E634532
	v_mfma_i32_16x16x32_i8 v[152:155], a[52:53], v[164:165], v[152:155]// 000000006E98: D3D70098 0E634934
	v_mfma_i32_16x16x32_i8 v[152:155], a[54:55], v[166:167], v[152:155]// 000000006EA0: D3D70098 0E634D36
	v_mfma_i32_16x16x32_i8 v[152:155], a[56:57], v[168:169], v[152:155]// 000000006EA8: D3D70098 0E635138
	buffer_load_dwordx4 a[116:119], v35, s[92:95], 0 offen offset:1024// 000000006EB0: E05C1400 80977423
	v_mfma_i32_16x16x32_i8 v[152:155], a[58:59], v[170:171], v[152:155]// 000000006EB8: D3D70098 0E63553A
	v_mfma_i32_16x16x32_i8 v[152:155], a[60:61], v[172:173], v[152:155]// 000000006EC0: D3D70098 0E63593C
	v_mfma_i32_16x16x32_i8 v[152:155], a[62:63], v[174:175], v[152:155]// 000000006EC8: D3D70098 0E635D3E
	v_mfma_i32_16x16x32_i8 v[156:159], a[48:49], v[176:177], v[156:159]// 000000006ED0: D3D7009C 0E736130
	buffer_load_dwordx4 a[120:123], v35, s[92:95], 0 offen offset:2048// 000000006ED8: E05C1800 80977823
	v_mfma_i32_16x16x32_i8 v[156:159], a[50:51], v[178:179], v[156:159]// 000000006EE0: D3D7009C 0E736532
	v_mfma_i32_16x16x32_i8 v[156:159], a[52:53], v[180:181], v[156:159]// 000000006EE8: D3D7009C 0E736934
	v_mfma_i32_16x16x32_i8 v[156:159], a[54:55], v[182:183], v[156:159]// 000000006EF0: D3D7009C 0E736D36
	v_mfma_i32_16x16x32_i8 v[156:159], a[56:57], v[184:185], v[156:159]// 000000006EF8: D3D7009C 0E737138
	buffer_load_dwordx4 a[124:127], v35, s[92:95], 0 offen offset:3072// 000000006F00: E05C1C00 80977C23
	v_mfma_i32_16x16x32_i8 v[156:159], a[58:59], v[186:187], v[156:159]// 000000006F08: D3D7009C 0E73753A
	v_mfma_i32_16x16x32_i8 v[156:159], a[60:61], v[188:189], v[156:159]// 000000006F10: D3D7009C 0E73793C
	v_mfma_i32_16x16x32_i8 v[156:159], a[62:63], v[190:191], v[156:159]// 000000006F18: D3D7009C 0E737D3E
	s_waitcnt vmcnt(8)                                         // 000000006F20: BF8C0F78
	s_barrier                                                  // 000000006F24: BF8A0000
	v_mfma_i32_16x16x32_i8 v[64:67], a[64:65], v[160:161], v[64:67]// 000000006F28: D3D70040 0D034140
	buffer_load_dwordx4 a[0:3], v32, s[24:27], 0 offen         // 000000006F30: E05C1000 80860020
	v_mfma_i32_16x16x32_i8 v[64:67], a[66:67], v[162:163], v[64:67]// 000000006F38: D3D70040 0D034542
	v_mfma_i32_16x16x32_i8 v[64:67], a[68:69], v[164:165], v[64:67]// 000000006F40: D3D70040 0D034944
	v_mfma_i32_16x16x32_i8 v[64:67], a[70:71], v[166:167], v[64:67]// 000000006F48: D3D70040 0D034D46
	v_mfma_i32_16x16x32_i8 v[64:67], a[72:73], v[168:169], v[64:67]// 000000006F50: D3D70040 0D035148
	buffer_load_dwordx4 a[4:7], v32, s[24:27], 0 offen offset:1024// 000000006F58: E05C1400 80860420
	v_mfma_i32_16x16x32_i8 v[64:67], a[74:75], v[170:171], v[64:67]// 000000006F60: D3D70040 0D03554A
	v_mfma_i32_16x16x32_i8 v[64:67], a[76:77], v[172:173], v[64:67]// 000000006F68: D3D70040 0D03594C
	v_mfma_i32_16x16x32_i8 v[64:67], a[78:79], v[174:175], v[64:67]// 000000006F70: D3D70040 0D035D4E
	v_mfma_i32_16x16x32_i8 v[68:71], a[64:65], v[176:177], v[68:71]// 000000006F78: D3D70044 0D136140
	buffer_load_dwordx4 a[8:11], v32, s[24:27], 0 offen offset:2048// 000000006F80: E05C1800 80860820
	v_mfma_i32_16x16x32_i8 v[68:71], a[66:67], v[178:179], v[68:71]// 000000006F88: D3D70044 0D136542
	v_mfma_i32_16x16x32_i8 v[68:71], a[68:69], v[180:181], v[68:71]// 000000006F90: D3D70044 0D136944
	v_mfma_i32_16x16x32_i8 v[68:71], a[70:71], v[182:183], v[68:71]// 000000006F98: D3D70044 0D136D46
	v_mfma_i32_16x16x32_i8 v[68:71], a[72:73], v[184:185], v[68:71]// 000000006FA0: D3D70044 0D137148
	buffer_load_dwordx4 a[12:15], v32, s[24:27], 0 offen offset:3072// 000000006FA8: E05C1C00 80860C20
	v_mfma_i32_16x16x32_i8 v[68:71], a[74:75], v[186:187], v[68:71]// 000000006FB0: D3D70044 0D13754A
	v_mfma_i32_16x16x32_i8 v[68:71], a[76:77], v[188:189], v[68:71]// 000000006FB8: D3D70044 0D13794C
	v_mfma_i32_16x16x32_i8 v[68:71], a[78:79], v[190:191], v[68:71]// 000000006FC0: D3D70044 0D137D4E
	v_mfma_i32_16x16x32_i8 v[72:75], a[80:81], v[160:161], v[72:75]// 000000006FC8: D3D70048 0D234150
	buffer_load_dwordx4 a[16:19], v33, s[24:27], 0 offen       // 000000006FD0: E05C1000 80861021
	v_mfma_i32_16x16x32_i8 v[72:75], a[82:83], v[162:163], v[72:75]// 000000006FD8: D3D70048 0D234552
	v_mfma_i32_16x16x32_i8 v[72:75], a[84:85], v[164:165], v[72:75]// 000000006FE0: D3D70048 0D234954
	v_mfma_i32_16x16x32_i8 v[72:75], a[86:87], v[166:167], v[72:75]// 000000006FE8: D3D70048 0D234D56
	v_mfma_i32_16x16x32_i8 v[72:75], a[88:89], v[168:169], v[72:75]// 000000006FF0: D3D70048 0D235158
	buffer_load_dwordx4 a[20:23], v33, s[24:27], 0 offen offset:1024// 000000006FF8: E05C1400 80861421
	v_mfma_i32_16x16x32_i8 v[72:75], a[90:91], v[170:171], v[72:75]// 000000007000: D3D70048 0D23555A
	v_mfma_i32_16x16x32_i8 v[72:75], a[92:93], v[172:173], v[72:75]// 000000007008: D3D70048 0D23595C
	v_mfma_i32_16x16x32_i8 v[72:75], a[94:95], v[174:175], v[72:75]// 000000007010: D3D70048 0D235D5E
	v_mfma_i32_16x16x32_i8 v[76:79], a[80:81], v[176:177], v[76:79]// 000000007018: D3D7004C 0D336150
	buffer_load_dwordx4 a[24:27], v33, s[24:27], 0 offen offset:2048// 000000007020: E05C1800 80861821
	v_mfma_i32_16x16x32_i8 v[76:79], a[82:83], v[178:179], v[76:79]// 000000007028: D3D7004C 0D336552
	v_mfma_i32_16x16x32_i8 v[76:79], a[84:85], v[180:181], v[76:79]// 000000007030: D3D7004C 0D336954
	v_mfma_i32_16x16x32_i8 v[76:79], a[86:87], v[182:183], v[76:79]// 000000007038: D3D7004C 0D336D56
	v_mfma_i32_16x16x32_i8 v[76:79], a[88:89], v[184:185], v[76:79]// 000000007040: D3D7004C 0D337158
	buffer_load_dwordx4 a[28:31], v33, s[24:27], 0 offen offset:3072// 000000007048: E05C1C00 80861C21
	v_mfma_i32_16x16x32_i8 v[76:79], a[90:91], v[186:187], v[76:79]// 000000007050: D3D7004C 0D33755A
	v_mfma_i32_16x16x32_i8 v[76:79], a[92:93], v[188:189], v[76:79]// 000000007058: D3D7004C 0D33795C
	v_mfma_i32_16x16x32_i8 v[76:79], a[94:95], v[190:191], v[76:79]// 000000007060: D3D7004C 0D337D5E
	s_waitcnt vmcnt(12)                                        // 000000007068: BF8C0F7C
	v_mfma_i32_16x16x32_i8 v[80:83], a[96:97], v[160:161], v[80:83]// 00000000706C: D3D70050 0D434160
	buffer_load_dwordx4 a[32:35], v34, s[24:27], 0 offen       // 000000007074: E05C1000 80862022
	v_mfma_i32_16x16x32_i8 v[80:83], a[98:99], v[162:163], v[80:83]// 00000000707C: D3D70050 0D434562
	v_mfma_i32_16x16x32_i8 v[80:83], a[100:101], v[164:165], v[80:83]// 000000007084: D3D70050 0D434964
	ds_read_b128 v[192:195], v2 offset:8320                    // 00000000708C: D9FE2080 C0000002
	v_mfma_i32_16x16x32_i8 v[80:83], a[102:103], v[166:167], v[80:83]// 000000007094: D3D70050 0D434D66
	v_mfma_i32_16x16x32_i8 v[80:83], a[104:105], v[168:169], v[80:83]// 00000000709C: D3D70050 0D435168
	buffer_load_dwordx4 a[36:39], v34, s[24:27], 0 offen offset:1024// 0000000070A4: E05C1400 80862422
	v_mfma_i32_16x16x32_i8 v[80:83], a[106:107], v[170:171], v[80:83]// 0000000070AC: D3D70050 0D43556A
	v_mfma_i32_16x16x32_i8 v[80:83], a[108:109], v[172:173], v[80:83]// 0000000070B4: D3D70050 0D43596C
	ds_read_b128 v[196:199], v2 offset:8384                    // 0000000070BC: D9FE20C0 C4000002
	v_mfma_i32_16x16x32_i8 v[80:83], a[110:111], v[174:175], v[80:83]// 0000000070C4: D3D70050 0D435D6E
	v_mfma_i32_16x16x32_i8 v[84:87], a[96:97], v[176:177], v[84:87]// 0000000070CC: D3D70054 0D536160
	buffer_load_dwordx4 a[40:43], v34, s[24:27], 0 offen offset:2048// 0000000070D4: E05C1800 80862822
	v_mfma_i32_16x16x32_i8 v[84:87], a[98:99], v[178:179], v[84:87]// 0000000070DC: D3D70054 0D536562
	v_mfma_i32_16x16x32_i8 v[84:87], a[100:101], v[180:181], v[84:87]// 0000000070E4: D3D70054 0D536964
	ds_read_b128 v[200:203], v2 offset:8448                    // 0000000070EC: D9FE2100 C8000002
	v_mfma_i32_16x16x32_i8 v[84:87], a[102:103], v[182:183], v[84:87]// 0000000070F4: D3D70054 0D536D66
	v_mfma_i32_16x16x32_i8 v[84:87], a[104:105], v[184:185], v[84:87]// 0000000070FC: D3D70054 0D537168
	buffer_load_dwordx4 a[44:47], v34, s[24:27], 0 offen offset:3072// 000000007104: E05C1C00 80862C22
	v_mfma_i32_16x16x32_i8 v[84:87], a[106:107], v[186:187], v[84:87]// 00000000710C: D3D70054 0D53756A
	v_mfma_i32_16x16x32_i8 v[84:87], a[108:109], v[188:189], v[84:87]// 000000007114: D3D70054 0D53796C
	ds_read_b128 v[204:207], v2 offset:8512                    // 00000000711C: D9FE2140 CC000002
	v_mfma_i32_16x16x32_i8 v[84:87], a[110:111], v[190:191], v[84:87]// 000000007124: D3D70054 0D537D6E
	s_waitcnt vmcnt(12)                                        // 00000000712C: BF8C0F7C
	v_mfma_i32_16x16x32_i8 v[88:91], a[112:113], v[160:161], v[88:91]// 000000007130: D3D70058 0D634170
	buffer_load_dwordx4 a[48:51], v35, s[24:27], 0 offen       // 000000007138: E05C1000 80863023
	v_mfma_i32_16x16x32_i8 v[88:91], a[114:115], v[162:163], v[88:91]// 000000007140: D3D70058 0D634572
	v_mfma_i32_16x16x32_i8 v[88:91], a[116:117], v[164:165], v[88:91]// 000000007148: D3D70058 0D634974
	ds_read_b128 v[208:211], v2 offset:9344                    // 000000007150: D9FE2480 D0000002
	v_mfma_i32_16x16x32_i8 v[88:91], a[118:119], v[166:167], v[88:91]// 000000007158: D3D70058 0D634D76
	v_mfma_i32_16x16x32_i8 v[88:91], a[120:121], v[168:169], v[88:91]// 000000007160: D3D70058 0D635178
	buffer_load_dwordx4 a[52:55], v35, s[24:27], 0 offen offset:1024// 000000007168: E05C1400 80863423
	v_mfma_i32_16x16x32_i8 v[88:91], a[122:123], v[170:171], v[88:91]// 000000007170: D3D70058 0D63557A
	v_mfma_i32_16x16x32_i8 v[88:91], a[124:125], v[172:173], v[88:91]// 000000007178: D3D70058 0D63597C
	ds_read_b128 v[212:215], v2 offset:9408                    // 000000007180: D9FE24C0 D4000002
	v_mfma_i32_16x16x32_i8 v[88:91], a[126:127], v[174:175], v[88:91]// 000000007188: D3D70058 0D635D7E
	v_mfma_i32_16x16x32_i8 v[92:95], a[112:113], v[176:177], v[92:95]// 000000007190: D3D7005C 0D736170
	buffer_load_dwordx4 a[56:59], v35, s[24:27], 0 offen offset:2048// 000000007198: E05C1800 80863823
	v_mfma_i32_16x16x32_i8 v[92:95], a[114:115], v[178:179], v[92:95]// 0000000071A0: D3D7005C 0D736572
	v_mfma_i32_16x16x32_i8 v[92:95], a[116:117], v[180:181], v[92:95]// 0000000071A8: D3D7005C 0D736974
	ds_read_b128 v[216:219], v2 offset:9472                    // 0000000071B0: D9FE2500 D8000002
	v_mfma_i32_16x16x32_i8 v[92:95], a[118:119], v[182:183], v[92:95]// 0000000071B8: D3D7005C 0D736D76
	v_mfma_i32_16x16x32_i8 v[92:95], a[120:121], v[184:185], v[92:95]// 0000000071C0: D3D7005C 0D737178
	buffer_load_dwordx4 a[60:63], v35, s[24:27], 0 offen offset:3072// 0000000071C8: E05C1C00 80863C23
	v_mfma_i32_16x16x32_i8 v[92:95], a[122:123], v[186:187], v[92:95]// 0000000071D0: D3D7005C 0D73757A
	v_mfma_i32_16x16x32_i8 v[92:95], a[124:125], v[188:189], v[92:95]// 0000000071D8: D3D7005C 0D73797C
	ds_read_b128 v[220:223], v2 offset:9536                    // 0000000071E0: D9FE2540 DC000002
	v_mfma_i32_16x16x32_i8 v[92:95], a[126:127], v[190:191], v[92:95]// 0000000071E8: D3D7005C 0D737D7E
	s_add_u32 s60, 0x200, s80                                  // 0000000071F0: 803C50FF 00000200
	s_cmp_lt_u32 s60, s81                                      // 0000000071F8: BF0A513C
	s_cselect_b32 s57, s57, 0                                  // 0000000071FC: 85398039
	s_add_u32 s60, 0x200, s80                                  // 000000007200: 803C50FF 00000200
	s_cmp_lt_u32 s60, s81                                      // 000000007208: BF0A513C
	s_cselect_b32 s58, s58, 0                                  // 00000000720C: 853A803A
	s_add_u32 s20, s57, s20                                    // 000000007210: 80141439
	s_addc_u32 s21, 0, s21                                     // 000000007214: 82151580
	s_add_u32 s24, s58, s24                                    // 000000007218: 8018183A
	s_addc_u32 s25, 0, s25                                     // 00000000721C: 82191980
	s_add_u32 s92, s90, s92                                    // 000000007220: 805C5C5A
	s_addc_u32 s93, 0, s93                                     // 000000007224: 825D5D80
	s_addk_i32 s80, 0x100                                      // 000000007228: B7500100
	s_cmp_lt_i32 s80, s81                                      // 00000000722C: BF045150
	s_cbranch_scc0 label_1296                                  // 000000007230: BF840189
	s_waitcnt vmcnt(8) lgkmcnt(0)                              // 000000007234: BF8C0078
	s_barrier                                                  // 000000007238: BF8A0000
	v_mfma_i32_16x16x32_i8 v[128:131], a[0:1], v[192:193], v[128:131]// 00000000723C: D3D70080 0E038100
	buffer_load_dwordx4 a[64:67], v32, s[92:95], 0 offen       // 000000007244: E05C1000 80974020
	v_mfma_i32_16x16x32_i8 v[128:131], a[2:3], v[194:195], v[128:131]// 00000000724C: D3D70080 0E038502
	v_mfma_i32_16x16x32_i8 v[128:131], a[4:5], v[196:197], v[128:131]// 000000007254: D3D70080 0E038904
	buffer_load_dword v24, s[20:23], 0 offen lds               // 00000000725C: E0511000 80050018
	s_add_u32 m0, 0x100, s50                                   // 000000007264: 807C32FF 00000100
	v_mfma_i32_16x16x32_i8 v[128:131], a[6:7], v[198:199], v[128:131]// 00000000726C: D3D70080 0E038D06
	v_mfma_i32_16x16x32_i8 v[128:131], a[8:9], v[200:201], v[128:131]// 000000007274: D3D70080 0E039108
	buffer_load_dwordx4 a[68:71], v32, s[92:95], 0 offen offset:1024// 00000000727C: E05C1400 80974420
	v_mfma_i32_16x16x32_i8 v[128:131], a[10:11], v[202:203], v[128:131]// 000000007284: D3D70080 0E03950A
	v_mfma_i32_16x16x32_i8 v[128:131], a[12:13], v[204:205], v[128:131]// 00000000728C: D3D70080 0E03990C
	buffer_load_dword v25, s[20:23], 0 offen lds               // 000000007294: E0511000 80050019
	s_add_u32 m0, 0x200, s50                                   // 00000000729C: 807C32FF 00000200
	v_mfma_i32_16x16x32_i8 v[128:131], a[14:15], v[206:207], v[128:131]// 0000000072A4: D3D70080 0E039D0E
	v_mfma_i32_16x16x32_i8 v[132:135], a[0:1], v[208:209], v[132:135]// 0000000072AC: D3D70084 0E13A100
	buffer_load_dwordx4 a[72:75], v32, s[92:95], 0 offen offset:2048// 0000000072B4: E05C1800 80974820
	v_mfma_i32_16x16x32_i8 v[132:135], a[2:3], v[210:211], v[132:135]// 0000000072BC: D3D70084 0E13A502
	v_mfma_i32_16x16x32_i8 v[132:135], a[4:5], v[212:213], v[132:135]// 0000000072C4: D3D70084 0E13A904
	buffer_load_dword v26, s[20:23], 0 offen lds               // 0000000072CC: E0511000 8005001A
	s_add_u32 m0, 0x300, s50                                   // 0000000072D4: 807C32FF 00000300
	v_mfma_i32_16x16x32_i8 v[132:135], a[6:7], v[214:215], v[132:135]// 0000000072DC: D3D70084 0E13AD06
	v_mfma_i32_16x16x32_i8 v[132:135], a[8:9], v[216:217], v[132:135]// 0000000072E4: D3D70084 0E13B108
	buffer_load_dwordx4 a[76:79], v32, s[92:95], 0 offen offset:3072// 0000000072EC: E05C1C00 80974C20
	v_mfma_i32_16x16x32_i8 v[132:135], a[10:11], v[218:219], v[132:135]// 0000000072F4: D3D70084 0E13B50A
	v_mfma_i32_16x16x32_i8 v[132:135], a[12:13], v[220:221], v[132:135]// 0000000072FC: D3D70084 0E13B90C
	buffer_load_dword v27, s[20:23], 0 offen lds               // 000000007304: E0511000 8005001B
	s_add_u32 m0, 0x400, s50                                   // 00000000730C: 807C32FF 00000400
	v_mfma_i32_16x16x32_i8 v[132:135], a[14:15], v[222:223], v[132:135]// 000000007314: D3D70084 0E13BD0E
	v_mfma_i32_16x16x32_i8 v[136:139], a[16:17], v[192:193], v[136:139]// 00000000731C: D3D70088 0E238110
	buffer_load_dwordx4 a[80:83], v33, s[92:95], 0 offen       // 000000007324: E05C1000 80975021
	v_mfma_i32_16x16x32_i8 v[136:139], a[18:19], v[194:195], v[136:139]// 00000000732C: D3D70088 0E238512
	v_mfma_i32_16x16x32_i8 v[136:139], a[20:21], v[196:197], v[136:139]// 000000007334: D3D70088 0E238914
	buffer_load_dword v28, s[20:23], 0 offen lds               // 00000000733C: E0511000 8005001C
	s_add_u32 m0, 0x500, s50                                   // 000000007344: 807C32FF 00000500
	v_mfma_i32_16x16x32_i8 v[136:139], a[22:23], v[198:199], v[136:139]// 00000000734C: D3D70088 0E238D16
	v_mfma_i32_16x16x32_i8 v[136:139], a[24:25], v[200:201], v[136:139]// 000000007354: D3D70088 0E239118
	buffer_load_dwordx4 a[84:87], v33, s[92:95], 0 offen offset:1024// 00000000735C: E05C1400 80975421
	v_mfma_i32_16x16x32_i8 v[136:139], a[26:27], v[202:203], v[136:139]// 000000007364: D3D70088 0E23951A
	v_mfma_i32_16x16x32_i8 v[136:139], a[28:29], v[204:205], v[136:139]// 00000000736C: D3D70088 0E23991C
	buffer_load_dword v29, s[20:23], 0 offen lds               // 000000007374: E0511000 8005001D
	s_add_u32 m0, 0x600, s50                                   // 00000000737C: 807C32FF 00000600
	v_mfma_i32_16x16x32_i8 v[136:139], a[30:31], v[206:207], v[136:139]// 000000007384: D3D70088 0E239D1E
	v_mfma_i32_16x16x32_i8 v[140:143], a[16:17], v[208:209], v[140:143]// 00000000738C: D3D7008C 0E33A110
	buffer_load_dwordx4 a[88:91], v33, s[92:95], 0 offen offset:2048// 000000007394: E05C1800 80975821
	v_mfma_i32_16x16x32_i8 v[140:143], a[18:19], v[210:211], v[140:143]// 00000000739C: D3D7008C 0E33A512
	v_mfma_i32_16x16x32_i8 v[140:143], a[20:21], v[212:213], v[140:143]// 0000000073A4: D3D7008C 0E33A914
	buffer_load_dword v30, s[20:23], 0 offen lds               // 0000000073AC: E0511000 8005001E
	s_add_u32 m0, 0x700, s50                                   // 0000000073B4: 807C32FF 00000700
	v_mfma_i32_16x16x32_i8 v[140:143], a[22:23], v[214:215], v[140:143]// 0000000073BC: D3D7008C 0E33AD16
	v_mfma_i32_16x16x32_i8 v[140:143], a[24:25], v[216:217], v[140:143]// 0000000073C4: D3D7008C 0E33B118
	buffer_load_dwordx4 a[92:95], v33, s[92:95], 0 offen offset:3072// 0000000073CC: E05C1C00 80975C21
	v_mfma_i32_16x16x32_i8 v[140:143], a[26:27], v[218:219], v[140:143]// 0000000073D4: D3D7008C 0E33B51A
	v_mfma_i32_16x16x32_i8 v[140:143], a[28:29], v[220:221], v[140:143]// 0000000073DC: D3D7008C 0E33B91C
	buffer_load_dword v31, s[20:23], 0 offen lds               // 0000000073E4: E0511000 8005001F
	s_add_u32 m0, 0, s51                                       // 0000000073EC: 807C3380
	v_mfma_i32_16x16x32_i8 v[140:143], a[30:31], v[222:223], v[140:143]// 0000000073F0: D3D7008C 0E33BD1E
	s_waitcnt vmcnt(20)                                        // 0000000073F8: BF8C4F74
	v_mfma_i32_16x16x32_i8 v[144:147], a[32:33], v[192:193], v[144:147]// 0000000073FC: D3D70090 0E438120
	buffer_load_dwordx4 a[96:99], v34, s[92:95], 0 offen       // 000000007404: E05C1000 80976022
	v_mfma_i32_16x16x32_i8 v[144:147], a[34:35], v[194:195], v[144:147]// 00000000740C: D3D70090 0E438522
	v_mfma_i32_16x16x32_i8 v[144:147], a[36:37], v[196:197], v[144:147]// 000000007414: D3D70090 0E438924
	v_mfma_i32_16x16x32_i8 v[144:147], a[38:39], v[198:199], v[144:147]// 00000000741C: D3D70090 0E438D26
	v_mfma_i32_16x16x32_i8 v[144:147], a[40:41], v[200:201], v[144:147]// 000000007424: D3D70090 0E439128
	buffer_load_dwordx4 a[100:103], v34, s[92:95], 0 offen offset:1024// 00000000742C: E05C1400 80976422
	v_mfma_i32_16x16x32_i8 v[144:147], a[42:43], v[202:203], v[144:147]// 000000007434: D3D70090 0E43952A
	v_mfma_i32_16x16x32_i8 v[144:147], a[44:45], v[204:205], v[144:147]// 00000000743C: D3D70090 0E43992C
	v_mfma_i32_16x16x32_i8 v[144:147], a[46:47], v[206:207], v[144:147]// 000000007444: D3D70090 0E439D2E
	v_mfma_i32_16x16x32_i8 v[148:151], a[32:33], v[208:209], v[148:151]// 00000000744C: D3D70094 0E53A120
	buffer_load_dwordx4 a[104:107], v34, s[92:95], 0 offen offset:2048// 000000007454: E05C1800 80976822
	v_mfma_i32_16x16x32_i8 v[148:151], a[34:35], v[210:211], v[148:151]// 00000000745C: D3D70094 0E53A522
	v_mfma_i32_16x16x32_i8 v[148:151], a[36:37], v[212:213], v[148:151]// 000000007464: D3D70094 0E53A924
	v_mfma_i32_16x16x32_i8 v[148:151], a[38:39], v[214:215], v[148:151]// 00000000746C: D3D70094 0E53AD26
	v_mfma_i32_16x16x32_i8 v[148:151], a[40:41], v[216:217], v[148:151]// 000000007474: D3D70094 0E53B128
	buffer_load_dwordx4 a[108:111], v34, s[92:95], 0 offen offset:3072// 00000000747C: E05C1C00 80976C22
	v_mfma_i32_16x16x32_i8 v[148:151], a[42:43], v[218:219], v[148:151]// 000000007484: D3D70094 0E53B52A
	v_mfma_i32_16x16x32_i8 v[148:151], a[44:45], v[220:221], v[148:151]// 00000000748C: D3D70094 0E53B92C
	v_mfma_i32_16x16x32_i8 v[148:151], a[46:47], v[222:223], v[148:151]// 000000007494: D3D70094 0E53BD2E
	s_waitcnt vmcnt(20)                                        // 00000000749C: BF8C4F74
	v_mfma_i32_16x16x32_i8 v[152:155], a[48:49], v[192:193], v[152:155]// 0000000074A0: D3D70098 0E638130
	buffer_load_dwordx4 a[112:115], v35, s[92:95], 0 offen     // 0000000074A8: E05C1000 80977023
	v_mfma_i32_16x16x32_i8 v[152:155], a[50:51], v[194:195], v[152:155]// 0000000074B0: D3D70098 0E638532
	v_mfma_i32_16x16x32_i8 v[152:155], a[52:53], v[196:197], v[152:155]// 0000000074B8: D3D70098 0E638934
	v_mfma_i32_16x16x32_i8 v[152:155], a[54:55], v[198:199], v[152:155]// 0000000074C0: D3D70098 0E638D36
	v_mfma_i32_16x16x32_i8 v[152:155], a[56:57], v[200:201], v[152:155]// 0000000074C8: D3D70098 0E639138
	buffer_load_dwordx4 a[116:119], v35, s[92:95], 0 offen offset:1024// 0000000074D0: E05C1400 80977423
	v_mfma_i32_16x16x32_i8 v[152:155], a[58:59], v[202:203], v[152:155]// 0000000074D8: D3D70098 0E63953A
	v_mfma_i32_16x16x32_i8 v[152:155], a[60:61], v[204:205], v[152:155]// 0000000074E0: D3D70098 0E63993C
	v_mfma_i32_16x16x32_i8 v[152:155], a[62:63], v[206:207], v[152:155]// 0000000074E8: D3D70098 0E639D3E
	v_mfma_i32_16x16x32_i8 v[156:159], a[48:49], v[208:209], v[156:159]// 0000000074F0: D3D7009C 0E73A130
	buffer_load_dwordx4 a[120:123], v35, s[92:95], 0 offen offset:2048// 0000000074F8: E05C1800 80977823
	v_mfma_i32_16x16x32_i8 v[156:159], a[50:51], v[210:211], v[156:159]// 000000007500: D3D7009C 0E73A532
	v_mfma_i32_16x16x32_i8 v[156:159], a[52:53], v[212:213], v[156:159]// 000000007508: D3D7009C 0E73A934
	v_mfma_i32_16x16x32_i8 v[156:159], a[54:55], v[214:215], v[156:159]// 000000007510: D3D7009C 0E73AD36
	v_mfma_i32_16x16x32_i8 v[156:159], a[56:57], v[216:217], v[156:159]// 000000007518: D3D7009C 0E73B138
	buffer_load_dwordx4 a[124:127], v35, s[92:95], 0 offen offset:3072// 000000007520: E05C1C00 80977C23
	v_mfma_i32_16x16x32_i8 v[156:159], a[58:59], v[218:219], v[156:159]// 000000007528: D3D7009C 0E73B53A
	v_mfma_i32_16x16x32_i8 v[156:159], a[60:61], v[220:221], v[156:159]// 000000007530: D3D7009C 0E73B93C
	v_mfma_i32_16x16x32_i8 v[156:159], a[62:63], v[222:223], v[156:159]// 000000007538: D3D7009C 0E73BD3E
	s_waitcnt vmcnt(8)                                         // 000000007540: BF8C0F78
	s_barrier                                                  // 000000007544: BF8A0000
	v_mfma_i32_16x16x32_i8 v[64:67], a[64:65], v[192:193], v[64:67]// 000000007548: D3D70040 0D038140
	buffer_load_dwordx4 a[0:3], v32, s[24:27], 0 offen         // 000000007550: E05C1000 80860020
	v_mfma_i32_16x16x32_i8 v[64:67], a[66:67], v[194:195], v[64:67]// 000000007558: D3D70040 0D038542
	v_mfma_i32_16x16x32_i8 v[64:67], a[68:69], v[196:197], v[64:67]// 000000007560: D3D70040 0D038944
	v_mfma_i32_16x16x32_i8 v[64:67], a[70:71], v[198:199], v[64:67]// 000000007568: D3D70040 0D038D46
	v_mfma_i32_16x16x32_i8 v[64:67], a[72:73], v[200:201], v[64:67]// 000000007570: D3D70040 0D039148
	buffer_load_dwordx4 a[4:7], v32, s[24:27], 0 offen offset:1024// 000000007578: E05C1400 80860420
	v_mfma_i32_16x16x32_i8 v[64:67], a[74:75], v[202:203], v[64:67]// 000000007580: D3D70040 0D03954A
	v_mfma_i32_16x16x32_i8 v[64:67], a[76:77], v[204:205], v[64:67]// 000000007588: D3D70040 0D03994C
	v_mfma_i32_16x16x32_i8 v[64:67], a[78:79], v[206:207], v[64:67]// 000000007590: D3D70040 0D039D4E
	v_mfma_i32_16x16x32_i8 v[68:71], a[64:65], v[208:209], v[68:71]// 000000007598: D3D70044 0D13A140
	buffer_load_dwordx4 a[8:11], v32, s[24:27], 0 offen offset:2048// 0000000075A0: E05C1800 80860820
	v_mfma_i32_16x16x32_i8 v[68:71], a[66:67], v[210:211], v[68:71]// 0000000075A8: D3D70044 0D13A542
	v_mfma_i32_16x16x32_i8 v[68:71], a[68:69], v[212:213], v[68:71]// 0000000075B0: D3D70044 0D13A944
	v_mfma_i32_16x16x32_i8 v[68:71], a[70:71], v[214:215], v[68:71]// 0000000075B8: D3D70044 0D13AD46
	v_mfma_i32_16x16x32_i8 v[68:71], a[72:73], v[216:217], v[68:71]// 0000000075C0: D3D70044 0D13B148
	buffer_load_dwordx4 a[12:15], v32, s[24:27], 0 offen offset:3072// 0000000075C8: E05C1C00 80860C20
	v_mfma_i32_16x16x32_i8 v[68:71], a[74:75], v[218:219], v[68:71]// 0000000075D0: D3D70044 0D13B54A
	v_mfma_i32_16x16x32_i8 v[68:71], a[76:77], v[220:221], v[68:71]// 0000000075D8: D3D70044 0D13B94C
	v_mfma_i32_16x16x32_i8 v[68:71], a[78:79], v[222:223], v[68:71]// 0000000075E0: D3D70044 0D13BD4E
	v_mfma_i32_16x16x32_i8 v[72:75], a[80:81], v[192:193], v[72:75]// 0000000075E8: D3D70048 0D238150
	buffer_load_dwordx4 a[16:19], v33, s[24:27], 0 offen       // 0000000075F0: E05C1000 80861021
	v_mfma_i32_16x16x32_i8 v[72:75], a[82:83], v[194:195], v[72:75]// 0000000075F8: D3D70048 0D238552
	v_mfma_i32_16x16x32_i8 v[72:75], a[84:85], v[196:197], v[72:75]// 000000007600: D3D70048 0D238954
	v_mfma_i32_16x16x32_i8 v[72:75], a[86:87], v[198:199], v[72:75]// 000000007608: D3D70048 0D238D56
	v_mfma_i32_16x16x32_i8 v[72:75], a[88:89], v[200:201], v[72:75]// 000000007610: D3D70048 0D239158
	buffer_load_dwordx4 a[20:23], v33, s[24:27], 0 offen offset:1024// 000000007618: E05C1400 80861421
	v_mfma_i32_16x16x32_i8 v[72:75], a[90:91], v[202:203], v[72:75]// 000000007620: D3D70048 0D23955A
	v_mfma_i32_16x16x32_i8 v[72:75], a[92:93], v[204:205], v[72:75]// 000000007628: D3D70048 0D23995C
	v_mfma_i32_16x16x32_i8 v[72:75], a[94:95], v[206:207], v[72:75]// 000000007630: D3D70048 0D239D5E
	v_mfma_i32_16x16x32_i8 v[76:79], a[80:81], v[208:209], v[76:79]// 000000007638: D3D7004C 0D33A150
	buffer_load_dwordx4 a[24:27], v33, s[24:27], 0 offen offset:2048// 000000007640: E05C1800 80861821
	v_mfma_i32_16x16x32_i8 v[76:79], a[82:83], v[210:211], v[76:79]// 000000007648: D3D7004C 0D33A552
	v_mfma_i32_16x16x32_i8 v[76:79], a[84:85], v[212:213], v[76:79]// 000000007650: D3D7004C 0D33A954
	v_mfma_i32_16x16x32_i8 v[76:79], a[86:87], v[214:215], v[76:79]// 000000007658: D3D7004C 0D33AD56
	v_mfma_i32_16x16x32_i8 v[76:79], a[88:89], v[216:217], v[76:79]// 000000007660: D3D7004C 0D33B158
	buffer_load_dwordx4 a[28:31], v33, s[24:27], 0 offen offset:3072// 000000007668: E05C1C00 80861C21
	v_mfma_i32_16x16x32_i8 v[76:79], a[90:91], v[218:219], v[76:79]// 000000007670: D3D7004C 0D33B55A
	v_mfma_i32_16x16x32_i8 v[76:79], a[92:93], v[220:221], v[76:79]// 000000007678: D3D7004C 0D33B95C
	v_mfma_i32_16x16x32_i8 v[76:79], a[94:95], v[222:223], v[76:79]// 000000007680: D3D7004C 0D33BD5E
	s_waitcnt vmcnt(12)                                        // 000000007688: BF8C0F7C
	v_mfma_i32_16x16x32_i8 v[80:83], a[96:97], v[192:193], v[80:83]// 00000000768C: D3D70050 0D438160
	buffer_load_dwordx4 a[32:35], v34, s[24:27], 0 offen       // 000000007694: E05C1000 80862022
	v_mfma_i32_16x16x32_i8 v[80:83], a[98:99], v[194:195], v[80:83]// 00000000769C: D3D70050 0D438562
	v_mfma_i32_16x16x32_i8 v[80:83], a[100:101], v[196:197], v[80:83]// 0000000076A4: D3D70050 0D438964
	ds_read_b128 v[160:163], v2                                // 0000000076AC: D9FE0000 A0000002
	v_mfma_i32_16x16x32_i8 v[80:83], a[102:103], v[198:199], v[80:83]// 0000000076B4: D3D70050 0D438D66
	v_mfma_i32_16x16x32_i8 v[80:83], a[104:105], v[200:201], v[80:83]// 0000000076BC: D3D70050 0D439168
	buffer_load_dwordx4 a[36:39], v34, s[24:27], 0 offen offset:1024// 0000000076C4: E05C1400 80862422
	v_mfma_i32_16x16x32_i8 v[80:83], a[106:107], v[202:203], v[80:83]// 0000000076CC: D3D70050 0D43956A
	v_mfma_i32_16x16x32_i8 v[80:83], a[108:109], v[204:205], v[80:83]// 0000000076D4: D3D70050 0D43996C
	ds_read_b128 v[164:167], v2 offset:64                      // 0000000076DC: D9FE0040 A4000002
	v_mfma_i32_16x16x32_i8 v[80:83], a[110:111], v[206:207], v[80:83]// 0000000076E4: D3D70050 0D439D6E
	v_mfma_i32_16x16x32_i8 v[84:87], a[96:97], v[208:209], v[84:87]// 0000000076EC: D3D70054 0D53A160
	buffer_load_dwordx4 a[40:43], v34, s[24:27], 0 offen offset:2048// 0000000076F4: E05C1800 80862822
	v_mfma_i32_16x16x32_i8 v[84:87], a[98:99], v[210:211], v[84:87]// 0000000076FC: D3D70054 0D53A562
	v_mfma_i32_16x16x32_i8 v[84:87], a[100:101], v[212:213], v[84:87]// 000000007704: D3D70054 0D53A964
	ds_read_b128 v[168:171], v2 offset:128                     // 00000000770C: D9FE0080 A8000002
	v_mfma_i32_16x16x32_i8 v[84:87], a[102:103], v[214:215], v[84:87]// 000000007714: D3D70054 0D53AD66
	v_mfma_i32_16x16x32_i8 v[84:87], a[104:105], v[216:217], v[84:87]// 00000000771C: D3D70054 0D53B168
	buffer_load_dwordx4 a[44:47], v34, s[24:27], 0 offen offset:3072// 000000007724: E05C1C00 80862C22
	v_mfma_i32_16x16x32_i8 v[84:87], a[106:107], v[218:219], v[84:87]// 00000000772C: D3D70054 0D53B56A
	v_mfma_i32_16x16x32_i8 v[84:87], a[108:109], v[220:221], v[84:87]// 000000007734: D3D70054 0D53B96C
	ds_read_b128 v[172:175], v2 offset:192                     // 00000000773C: D9FE00C0 AC000002
	v_mfma_i32_16x16x32_i8 v[84:87], a[110:111], v[222:223], v[84:87]// 000000007744: D3D70054 0D53BD6E
	s_waitcnt vmcnt(12)                                        // 00000000774C: BF8C0F7C
	v_mfma_i32_16x16x32_i8 v[88:91], a[112:113], v[192:193], v[88:91]// 000000007750: D3D70058 0D638170
	buffer_load_dwordx4 a[48:51], v35, s[24:27], 0 offen       // 000000007758: E05C1000 80863023
	v_mfma_i32_16x16x32_i8 v[88:91], a[114:115], v[194:195], v[88:91]// 000000007760: D3D70058 0D638572
	v_mfma_i32_16x16x32_i8 v[88:91], a[116:117], v[196:197], v[88:91]// 000000007768: D3D70058 0D638974
	ds_read_b128 v[176:179], v2 offset:1024                    // 000000007770: D9FE0400 B0000002
	v_mfma_i32_16x16x32_i8 v[88:91], a[118:119], v[198:199], v[88:91]// 000000007778: D3D70058 0D638D76
	v_mfma_i32_16x16x32_i8 v[88:91], a[120:121], v[200:201], v[88:91]// 000000007780: D3D70058 0D639178
	buffer_load_dwordx4 a[52:55], v35, s[24:27], 0 offen offset:1024// 000000007788: E05C1400 80863423
	v_mfma_i32_16x16x32_i8 v[88:91], a[122:123], v[202:203], v[88:91]// 000000007790: D3D70058 0D63957A
	v_mfma_i32_16x16x32_i8 v[88:91], a[124:125], v[204:205], v[88:91]// 000000007798: D3D70058 0D63997C
	ds_read_b128 v[180:183], v2 offset:1088                    // 0000000077A0: D9FE0440 B4000002
	v_mfma_i32_16x16x32_i8 v[88:91], a[126:127], v[206:207], v[88:91]// 0000000077A8: D3D70058 0D639D7E
	v_mfma_i32_16x16x32_i8 v[92:95], a[112:113], v[208:209], v[92:95]// 0000000077B0: D3D7005C 0D73A170
	buffer_load_dwordx4 a[56:59], v35, s[24:27], 0 offen offset:2048// 0000000077B8: E05C1800 80863823
	v_mfma_i32_16x16x32_i8 v[92:95], a[114:115], v[210:211], v[92:95]// 0000000077C0: D3D7005C 0D73A572
	v_mfma_i32_16x16x32_i8 v[92:95], a[116:117], v[212:213], v[92:95]// 0000000077C8: D3D7005C 0D73A974
	ds_read_b128 v[184:187], v2 offset:1152                    // 0000000077D0: D9FE0480 B8000002
	v_mfma_i32_16x16x32_i8 v[92:95], a[118:119], v[214:215], v[92:95]// 0000000077D8: D3D7005C 0D73AD76
	v_mfma_i32_16x16x32_i8 v[92:95], a[120:121], v[216:217], v[92:95]// 0000000077E0: D3D7005C 0D73B178
	buffer_load_dwordx4 a[60:63], v35, s[24:27], 0 offen offset:3072// 0000000077E8: E05C1C00 80863C23
	v_mfma_i32_16x16x32_i8 v[92:95], a[122:123], v[218:219], v[92:95]// 0000000077F0: D3D7005C 0D73B57A
	v_mfma_i32_16x16x32_i8 v[92:95], a[124:125], v[220:221], v[92:95]// 0000000077F8: D3D7005C 0D73B97C
	ds_read_b128 v[188:191], v2 offset:1216                    // 000000007800: D9FE04C0 BC000002
	v_mfma_i32_16x16x32_i8 v[92:95], a[126:127], v[222:223], v[92:95]// 000000007808: D3D7005C 0D73BD7E
	s_add_u32 s60, 0x200, s80                                  // 000000007810: 803C50FF 00000200
	s_cmp_lt_u32 s60, s81                                      // 000000007818: BF0A513C
	s_cselect_b32 s57, s57, 0                                  // 00000000781C: 85398039
	s_add_u32 s60, 0x200, s80                                  // 000000007820: 803C50FF 00000200
	s_cmp_lt_u32 s60, s81                                      // 000000007828: BF0A513C
	s_cselect_b32 s58, s58, 0                                  // 00000000782C: 853A803A
	s_add_u32 s20, s57, s20                                    // 000000007830: 80141439
	s_addc_u32 s21, 0, s21                                     // 000000007834: 82151580
	s_add_u32 s24, s58, s24                                    // 000000007838: 8018183A
	s_addc_u32 s25, 0, s25                                     // 00000000783C: 82191980
	s_add_u32 s92, s90, s92                                    // 000000007840: 805C5C5A
	s_addc_u32 s93, 0, s93                                     // 000000007844: 825D5D80
	s_addk_i32 s80, 0x100                                      // 000000007848: B7500100
	s_cmp_lt_i32 s80, s81                                      // 00000000784C: BF045150
	s_cbranch_scc0 label_1296                                  // 000000007850: BF840001
	s_branch label_0F85                                        // 000000007854: BF82FCEF

0000000000007858 <label_1296>:
	s_mov_b32 s36, -1                                          // 000000007858: BEA400C1
	s_mov_b32 s37, -1                                          // 00000000785C: BEA500C1
	s_mov_b64 s[60:61], 0                                      // 000000007860: BEBC0180
	s_cmp_lt_u32 s82, s66                                      // 000000007864: BF0A4252
	s_cselect_b64 s[20:21], s[36:37], s[60:61]                 // 000000007868: 85943C24
	s_cmp_lt_u32 s83, s66                                      // 00000000786C: BF0A4253
	s_cselect_b64 s[22:23], s[36:37], s[60:61]                 // 000000007870: 85963C24
	s_cmp_lt_u32 s84, s66                                      // 000000007874: BF0A4254
	s_cselect_b64 s[24:25], s[36:37], s[60:61]                 // 000000007878: 85983C24
	s_cmp_lt_u32 s85, s66                                      // 00000000787C: BF0A4255
	s_cselect_b64 s[26:27], s[36:37], s[60:61]                 // 000000007880: 859A3C24
	s_cmp_lt_u32 s86, s66                                      // 000000007884: BF0A4256
	s_cselect_b64 s[28:29], s[36:37], s[60:61]                 // 000000007888: 859C3C24
	s_cmp_lt_u32 s87, s66                                      // 00000000788C: BF0A4257
	s_cselect_b64 s[30:31], s[36:37], s[60:61]                 // 000000007890: 859E3C24
	s_cmp_lt_u32 s88, s66                                      // 000000007894: BF0A4258
	s_cselect_b64 s[32:33], s[36:37], s[60:61]                 // 000000007898: 85A03C24
	s_cmp_lt_u32 s89, s66                                      // 00000000789C: BF0A4259
	s_cselect_b64 s[34:35], s[36:37], s[60:61]                 // 0000000078A0: 85A23C24
	v_cvt_f32_i32_e32 v128, v128                               // 0000000078A4: 7F000B80
	v_cvt_f32_i32_e32 v129, v129                               // 0000000078A8: 7F020B81
	v_cvt_f32_i32_e32 v130, v130                               // 0000000078AC: 7F040B82
	v_cvt_f32_i32_e32 v131, v131                               // 0000000078B0: 7F060B83
	v_mul_f32_e32 v128, v13, v128                              // 0000000078B4: 0B01010D
	v_mul_f32_e32 v129, v13, v129                              // 0000000078B8: 0B03030D
	v_mul_f32_e32 v130, v13, v130                              // 0000000078BC: 0B05050D
	v_mul_f32_e32 v131, v13, v131                              // 0000000078C0: 0B07070D
	v_mul_f32_dpp v128, v15, v128 row_newbcast:0 row_mask:0xf bank_mask:0xf// 0000000078C4: 0B0100FA FF01500F
	v_mul_f32_dpp v129, v15, v129 row_newbcast:1 row_mask:0xf bank_mask:0xf// 0000000078CC: 0B0302FA FF01510F
	v_mul_f32_dpp v130, v15, v130 row_newbcast:2 row_mask:0xf bank_mask:0xf// 0000000078D4: 0B0504FA FF01520F
	v_mul_f32_dpp v131, v15, v131 row_newbcast:3 row_mask:0xf bank_mask:0xf// 0000000078DC: 0B0706FA FF01530F
	v_cvt_f32_i32_e32 v132, v132                               // 0000000078E4: 7F080B84
	v_cvt_f32_i32_e32 v133, v133                               // 0000000078E8: 7F0A0B85
	v_cvt_f32_i32_e32 v134, v134                               // 0000000078EC: 7F0C0B86
	v_cvt_f32_i32_e32 v135, v135                               // 0000000078F0: 7F0E0B87
	v_mul_f32_e32 v132, v14, v132                              // 0000000078F4: 0B09090E
	v_mul_f32_e32 v133, v14, v133                              // 0000000078F8: 0B0B0B0E
	v_mul_f32_e32 v134, v14, v134                              // 0000000078FC: 0B0D0D0E
	v_mul_f32_e32 v135, v14, v135                              // 000000007900: 0B0F0F0E
	v_mul_f32_dpp v132, v15, v132 row_newbcast:0 row_mask:0xf bank_mask:0xf// 000000007904: 0B0908FA FF01500F
	v_mul_f32_dpp v133, v15, v133 row_newbcast:1 row_mask:0xf bank_mask:0xf// 00000000790C: 0B0B0AFA FF01510F
	v_mul_f32_dpp v134, v15, v134 row_newbcast:2 row_mask:0xf bank_mask:0xf// 000000007914: 0B0D0CFA FF01520F
	v_mul_f32_dpp v135, v15, v135 row_newbcast:3 row_mask:0xf bank_mask:0xf// 00000000791C: 0B0F0EFA FF01530F
	v_cvt_f32_i32_e32 v136, v136                               // 000000007924: 7F100B88
	v_cvt_f32_i32_e32 v137, v137                               // 000000007928: 7F120B89
	v_cvt_f32_i32_e32 v138, v138                               // 00000000792C: 7F140B8A
	v_cvt_f32_i32_e32 v139, v139                               // 000000007930: 7F160B8B
	v_mul_f32_e32 v136, v13, v136                              // 000000007934: 0B11110D
	v_mul_f32_e32 v137, v13, v137                              // 000000007938: 0B13130D
	v_mul_f32_e32 v138, v13, v138                              // 00000000793C: 0B15150D
	v_mul_f32_e32 v139, v13, v139                              // 000000007940: 0B17170D
	v_mul_f32_dpp v136, v15, v136 row_newbcast:4 row_mask:0xf bank_mask:0xf// 000000007944: 0B1110FA FF01540F
	v_mul_f32_dpp v137, v15, v137 row_newbcast:5 row_mask:0xf bank_mask:0xf// 00000000794C: 0B1312FA FF01550F
	v_mul_f32_dpp v138, v15, v138 row_newbcast:6 row_mask:0xf bank_mask:0xf// 000000007954: 0B1514FA FF01560F
	v_mul_f32_dpp v139, v15, v139 row_newbcast:7 row_mask:0xf bank_mask:0xf// 00000000795C: 0B1716FA FF01570F
	v_cvt_f32_i32_e32 v140, v140                               // 000000007964: 7F180B8C
	v_cvt_f32_i32_e32 v141, v141                               // 000000007968: 7F1A0B8D
	v_cvt_f32_i32_e32 v142, v142                               // 00000000796C: 7F1C0B8E
	v_cvt_f32_i32_e32 v143, v143                               // 000000007970: 7F1E0B8F
	v_mul_f32_e32 v140, v14, v140                              // 000000007974: 0B19190E
	v_mul_f32_e32 v141, v14, v141                              // 000000007978: 0B1B1B0E
	v_mul_f32_e32 v142, v14, v142                              // 00000000797C: 0B1D1D0E
	v_mul_f32_e32 v143, v14, v143                              // 000000007980: 0B1F1F0E
	v_mul_f32_dpp v140, v15, v140 row_newbcast:4 row_mask:0xf bank_mask:0xf// 000000007984: 0B1918FA FF01540F
	v_mul_f32_dpp v141, v15, v141 row_newbcast:5 row_mask:0xf bank_mask:0xf// 00000000798C: 0B1B1AFA FF01550F
	v_mul_f32_dpp v142, v15, v142 row_newbcast:6 row_mask:0xf bank_mask:0xf// 000000007994: 0B1D1CFA FF01560F
	v_mul_f32_dpp v143, v15, v143 row_newbcast:7 row_mask:0xf bank_mask:0xf// 00000000799C: 0B1F1EFA FF01570F
	v_cvt_f32_i32_e32 v144, v144                               // 0000000079A4: 7F200B90
	v_cvt_f32_i32_e32 v145, v145                               // 0000000079A8: 7F220B91
	v_cvt_f32_i32_e32 v146, v146                               // 0000000079AC: 7F240B92
	v_cvt_f32_i32_e32 v147, v147                               // 0000000079B0: 7F260B93
	v_mul_f32_e32 v144, v13, v144                              // 0000000079B4: 0B21210D
	v_mul_f32_e32 v145, v13, v145                              // 0000000079B8: 0B23230D
	v_mul_f32_e32 v146, v13, v146                              // 0000000079BC: 0B25250D
	v_mul_f32_e32 v147, v13, v147                              // 0000000079C0: 0B27270D
	v_mul_f32_dpp v144, v15, v144 row_newbcast:8 row_mask:0xf bank_mask:0xf// 0000000079C4: 0B2120FA FF01580F
	v_mul_f32_dpp v145, v15, v145 row_newbcast:9 row_mask:0xf bank_mask:0xf// 0000000079CC: 0B2322FA FF01590F
	v_mul_f32_dpp v146, v15, v146 row_newbcast:10 row_mask:0xf bank_mask:0xf// 0000000079D4: 0B2524FA FF015A0F
	v_mul_f32_dpp v147, v15, v147 row_newbcast:11 row_mask:0xf bank_mask:0xf// 0000000079DC: 0B2726FA FF015B0F
	v_cvt_f32_i32_e32 v148, v148                               // 0000000079E4: 7F280B94
	v_cvt_f32_i32_e32 v149, v149                               // 0000000079E8: 7F2A0B95
	v_cvt_f32_i32_e32 v150, v150                               // 0000000079EC: 7F2C0B96
	v_cvt_f32_i32_e32 v151, v151                               // 0000000079F0: 7F2E0B97
	v_mul_f32_e32 v148, v14, v148                              // 0000000079F4: 0B29290E
	v_mul_f32_e32 v149, v14, v149                              // 0000000079F8: 0B2B2B0E
	v_mul_f32_e32 v150, v14, v150                              // 0000000079FC: 0B2D2D0E
	v_mul_f32_e32 v151, v14, v151                              // 000000007A00: 0B2F2F0E
	v_mul_f32_dpp v148, v15, v148 row_newbcast:8 row_mask:0xf bank_mask:0xf// 000000007A04: 0B2928FA FF01580F
	v_mul_f32_dpp v149, v15, v149 row_newbcast:9 row_mask:0xf bank_mask:0xf// 000000007A0C: 0B2B2AFA FF01590F
	v_mul_f32_dpp v150, v15, v150 row_newbcast:10 row_mask:0xf bank_mask:0xf// 000000007A14: 0B2D2CFA FF015A0F
	v_mul_f32_dpp v151, v15, v151 row_newbcast:11 row_mask:0xf bank_mask:0xf// 000000007A1C: 0B2F2EFA FF015B0F
	v_cvt_f32_i32_e32 v152, v152                               // 000000007A24: 7F300B98
	v_cvt_f32_i32_e32 v153, v153                               // 000000007A28: 7F320B99
	v_cvt_f32_i32_e32 v154, v154                               // 000000007A2C: 7F340B9A
	v_cvt_f32_i32_e32 v155, v155                               // 000000007A30: 7F360B9B
	v_mul_f32_e32 v152, v13, v152                              // 000000007A34: 0B31310D
	v_mul_f32_e32 v153, v13, v153                              // 000000007A38: 0B33330D
	v_mul_f32_e32 v154, v13, v154                              // 000000007A3C: 0B35350D
	v_mul_f32_e32 v155, v13, v155                              // 000000007A40: 0B37370D
	v_mul_f32_dpp v152, v15, v152 row_newbcast:12 row_mask:0xf bank_mask:0xf// 000000007A44: 0B3130FA FF015C0F
	v_mul_f32_dpp v153, v15, v153 row_newbcast:13 row_mask:0xf bank_mask:0xf// 000000007A4C: 0B3332FA FF015D0F
	v_mul_f32_dpp v154, v15, v154 row_newbcast:14 row_mask:0xf bank_mask:0xf// 000000007A54: 0B3534FA FF015E0F
	v_mul_f32_dpp v155, v15, v155 row_newbcast:15 row_mask:0xf bank_mask:0xf// 000000007A5C: 0B3736FA FF015F0F
	v_cvt_f32_i32_e32 v156, v156                               // 000000007A64: 7F380B9C
	v_cvt_f32_i32_e32 v157, v157                               // 000000007A68: 7F3A0B9D
	v_cvt_f32_i32_e32 v158, v158                               // 000000007A6C: 7F3C0B9E
	v_cvt_f32_i32_e32 v159, v159                               // 000000007A70: 7F3E0B9F
	v_mul_f32_e32 v156, v14, v156                              // 000000007A74: 0B39390E
	v_mul_f32_e32 v157, v14, v157                              // 000000007A78: 0B3B3B0E
	v_mul_f32_e32 v158, v14, v158                              // 000000007A7C: 0B3D3D0E
	v_mul_f32_e32 v159, v14, v159                              // 000000007A80: 0B3F3F0E
	v_mul_f32_dpp v156, v15, v156 row_newbcast:12 row_mask:0xf bank_mask:0xf// 000000007A84: 0B3938FA FF015C0F
	v_mul_f32_dpp v157, v15, v157 row_newbcast:13 row_mask:0xf bank_mask:0xf// 000000007A8C: 0B3B3AFA FF015D0F
	v_mul_f32_dpp v158, v15, v158 row_newbcast:14 row_mask:0xf bank_mask:0xf// 000000007A94: 0B3D3CFA FF015E0F
	v_mul_f32_dpp v159, v15, v159 row_newbcast:15 row_mask:0xf bank_mask:0xf// 000000007A9C: 0B3F3EFA FF015F0F
	v_cvt_f32_i32_e32 v64, v64                                 // 000000007AA4: 7E800B40
	v_cvt_f32_i32_e32 v65, v65                                 // 000000007AA8: 7E820B41
	v_cvt_f32_i32_e32 v66, v66                                 // 000000007AAC: 7E840B42
	v_cvt_f32_i32_e32 v67, v67                                 // 000000007AB0: 7E860B43
	v_mul_f32_e32 v64, v13, v64                                // 000000007AB4: 0A80810D
	v_mul_f32_e32 v65, v13, v65                                // 000000007AB8: 0A82830D
	v_mul_f32_e32 v66, v13, v66                                // 000000007ABC: 0A84850D
	v_mul_f32_e32 v67, v13, v67                                // 000000007AC0: 0A86870D
	v_mul_f32_dpp v64, v44, v64 row_newbcast:0 row_mask:0xf bank_mask:0xf// 000000007AC4: 0A8080FA FF01502C
	v_mul_f32_dpp v65, v44, v65 row_newbcast:1 row_mask:0xf bank_mask:0xf// 000000007ACC: 0A8282FA FF01512C
	v_mul_f32_dpp v66, v44, v66 row_newbcast:2 row_mask:0xf bank_mask:0xf// 000000007AD4: 0A8484FA FF01522C
	v_mul_f32_dpp v67, v44, v67 row_newbcast:3 row_mask:0xf bank_mask:0xf// 000000007ADC: 0A8686FA FF01532C
	v_cvt_f32_i32_e32 v68, v68                                 // 000000007AE4: 7E880B44
	v_cvt_f32_i32_e32 v69, v69                                 // 000000007AE8: 7E8A0B45
	v_cvt_f32_i32_e32 v70, v70                                 // 000000007AEC: 7E8C0B46
	v_cvt_f32_i32_e32 v71, v71                                 // 000000007AF0: 7E8E0B47
	v_mul_f32_e32 v68, v14, v68                                // 000000007AF4: 0A88890E
	v_mul_f32_e32 v69, v14, v69                                // 000000007AF8: 0A8A8B0E
	v_mul_f32_e32 v70, v14, v70                                // 000000007AFC: 0A8C8D0E
	v_mul_f32_e32 v71, v14, v71                                // 000000007B00: 0A8E8F0E
	v_mul_f32_dpp v68, v44, v68 row_newbcast:0 row_mask:0xf bank_mask:0xf// 000000007B04: 0A8888FA FF01502C
	v_mul_f32_dpp v69, v44, v69 row_newbcast:1 row_mask:0xf bank_mask:0xf// 000000007B0C: 0A8A8AFA FF01512C
	v_mul_f32_dpp v70, v44, v70 row_newbcast:2 row_mask:0xf bank_mask:0xf// 000000007B14: 0A8C8CFA FF01522C
	v_mul_f32_dpp v71, v44, v71 row_newbcast:3 row_mask:0xf bank_mask:0xf// 000000007B1C: 0A8E8EFA FF01532C
	v_cvt_f32_i32_e32 v72, v72                                 // 000000007B24: 7E900B48
	v_cvt_f32_i32_e32 v73, v73                                 // 000000007B28: 7E920B49
	v_cvt_f32_i32_e32 v74, v74                                 // 000000007B2C: 7E940B4A
	v_cvt_f32_i32_e32 v75, v75                                 // 000000007B30: 7E960B4B
	v_mul_f32_e32 v72, v13, v72                                // 000000007B34: 0A90910D
	v_mul_f32_e32 v73, v13, v73                                // 000000007B38: 0A92930D
	v_mul_f32_e32 v74, v13, v74                                // 000000007B3C: 0A94950D
	v_mul_f32_e32 v75, v13, v75                                // 000000007B40: 0A96970D
	v_mul_f32_dpp v72, v44, v72 row_newbcast:4 row_mask:0xf bank_mask:0xf// 000000007B44: 0A9090FA FF01542C
	v_mul_f32_dpp v73, v44, v73 row_newbcast:5 row_mask:0xf bank_mask:0xf// 000000007B4C: 0A9292FA FF01552C
	v_mul_f32_dpp v74, v44, v74 row_newbcast:6 row_mask:0xf bank_mask:0xf// 000000007B54: 0A9494FA FF01562C
	v_mul_f32_dpp v75, v44, v75 row_newbcast:7 row_mask:0xf bank_mask:0xf// 000000007B5C: 0A9696FA FF01572C
	v_cvt_f32_i32_e32 v76, v76                                 // 000000007B64: 7E980B4C
	v_cvt_f32_i32_e32 v77, v77                                 // 000000007B68: 7E9A0B4D
	v_cvt_f32_i32_e32 v78, v78                                 // 000000007B6C: 7E9C0B4E
	v_cvt_f32_i32_e32 v79, v79                                 // 000000007B70: 7E9E0B4F
	v_mul_f32_e32 v76, v14, v76                                // 000000007B74: 0A98990E
	v_mul_f32_e32 v77, v14, v77                                // 000000007B78: 0A9A9B0E
	v_mul_f32_e32 v78, v14, v78                                // 000000007B7C: 0A9C9D0E
	v_mul_f32_e32 v79, v14, v79                                // 000000007B80: 0A9E9F0E
	v_mul_f32_dpp v76, v44, v76 row_newbcast:4 row_mask:0xf bank_mask:0xf// 000000007B84: 0A9898FA FF01542C
	v_mul_f32_dpp v77, v44, v77 row_newbcast:5 row_mask:0xf bank_mask:0xf// 000000007B8C: 0A9A9AFA FF01552C
	v_mul_f32_dpp v78, v44, v78 row_newbcast:6 row_mask:0xf bank_mask:0xf// 000000007B94: 0A9C9CFA FF01562C
	v_mul_f32_dpp v79, v44, v79 row_newbcast:7 row_mask:0xf bank_mask:0xf// 000000007B9C: 0A9E9EFA FF01572C
	v_cvt_f32_i32_e32 v80, v80                                 // 000000007BA4: 7EA00B50
	v_cvt_f32_i32_e32 v81, v81                                 // 000000007BA8: 7EA20B51
	v_cvt_f32_i32_e32 v82, v82                                 // 000000007BAC: 7EA40B52
	v_cvt_f32_i32_e32 v83, v83                                 // 000000007BB0: 7EA60B53
	v_mul_f32_e32 v80, v13, v80                                // 000000007BB4: 0AA0A10D
	v_mul_f32_e32 v81, v13, v81                                // 000000007BB8: 0AA2A30D
	v_mul_f32_e32 v82, v13, v82                                // 000000007BBC: 0AA4A50D
	v_mul_f32_e32 v83, v13, v83                                // 000000007BC0: 0AA6A70D
	v_mul_f32_dpp v80, v44, v80 row_newbcast:8 row_mask:0xf bank_mask:0xf// 000000007BC4: 0AA0A0FA FF01582C
	v_mul_f32_dpp v81, v44, v81 row_newbcast:9 row_mask:0xf bank_mask:0xf// 000000007BCC: 0AA2A2FA FF01592C
	v_mul_f32_dpp v82, v44, v82 row_newbcast:10 row_mask:0xf bank_mask:0xf// 000000007BD4: 0AA4A4FA FF015A2C
	v_mul_f32_dpp v83, v44, v83 row_newbcast:11 row_mask:0xf bank_mask:0xf// 000000007BDC: 0AA6A6FA FF015B2C
	v_cvt_f32_i32_e32 v84, v84                                 // 000000007BE4: 7EA80B54
	v_cvt_f32_i32_e32 v85, v85                                 // 000000007BE8: 7EAA0B55
	v_cvt_f32_i32_e32 v86, v86                                 // 000000007BEC: 7EAC0B56
	v_cvt_f32_i32_e32 v87, v87                                 // 000000007BF0: 7EAE0B57
	v_mul_f32_e32 v84, v14, v84                                // 000000007BF4: 0AA8A90E
	v_mul_f32_e32 v85, v14, v85                                // 000000007BF8: 0AAAAB0E
	v_mul_f32_e32 v86, v14, v86                                // 000000007BFC: 0AACAD0E
	v_mul_f32_e32 v87, v14, v87                                // 000000007C00: 0AAEAF0E
	v_mul_f32_dpp v84, v44, v84 row_newbcast:8 row_mask:0xf bank_mask:0xf// 000000007C04: 0AA8A8FA FF01582C
	v_mul_f32_dpp v85, v44, v85 row_newbcast:9 row_mask:0xf bank_mask:0xf// 000000007C0C: 0AAAAAFA FF01592C
	v_mul_f32_dpp v86, v44, v86 row_newbcast:10 row_mask:0xf bank_mask:0xf// 000000007C14: 0AACACFA FF015A2C
	v_mul_f32_dpp v87, v44, v87 row_newbcast:11 row_mask:0xf bank_mask:0xf// 000000007C1C: 0AAEAEFA FF015B2C
	v_cvt_f32_i32_e32 v88, v88                                 // 000000007C24: 7EB00B58
	v_cvt_f32_i32_e32 v89, v89                                 // 000000007C28: 7EB20B59
	v_cvt_f32_i32_e32 v90, v90                                 // 000000007C2C: 7EB40B5A
	v_cvt_f32_i32_e32 v91, v91                                 // 000000007C30: 7EB60B5B
	v_mul_f32_e32 v88, v13, v88                                // 000000007C34: 0AB0B10D
	v_mul_f32_e32 v89, v13, v89                                // 000000007C38: 0AB2B30D
	v_mul_f32_e32 v90, v13, v90                                // 000000007C3C: 0AB4B50D
	v_mul_f32_e32 v91, v13, v91                                // 000000007C40: 0AB6B70D
	v_mul_f32_dpp v88, v44, v88 row_newbcast:12 row_mask:0xf bank_mask:0xf// 000000007C44: 0AB0B0FA FF015C2C
	v_mul_f32_dpp v89, v44, v89 row_newbcast:13 row_mask:0xf bank_mask:0xf// 000000007C4C: 0AB2B2FA FF015D2C
	v_mul_f32_dpp v90, v44, v90 row_newbcast:14 row_mask:0xf bank_mask:0xf// 000000007C54: 0AB4B4FA FF015E2C
	v_mul_f32_dpp v91, v44, v91 row_newbcast:15 row_mask:0xf bank_mask:0xf// 000000007C5C: 0AB6B6FA FF015F2C
	v_cvt_f32_i32_e32 v92, v92                                 // 000000007C64: 7EB80B5C
	v_cvt_f32_i32_e32 v93, v93                                 // 000000007C68: 7EBA0B5D
	v_cvt_f32_i32_e32 v94, v94                                 // 000000007C6C: 7EBC0B5E
	v_cvt_f32_i32_e32 v95, v95                                 // 000000007C70: 7EBE0B5F
	v_mul_f32_e32 v92, v14, v92                                // 000000007C74: 0AB8B90E
	v_mul_f32_e32 v93, v14, v93                                // 000000007C78: 0ABABB0E
	v_mul_f32_e32 v94, v14, v94                                // 000000007C7C: 0ABCBD0E
	v_mul_f32_e32 v95, v14, v95                                // 000000007C80: 0ABEBF0E
	v_mul_f32_dpp v92, v44, v92 row_newbcast:12 row_mask:0xf bank_mask:0xf// 000000007C84: 0AB8B8FA FF015C2C
	v_mul_f32_dpp v93, v44, v93 row_newbcast:13 row_mask:0xf bank_mask:0xf// 000000007C8C: 0ABABAFA FF015D2C
	v_mul_f32_dpp v94, v44, v94 row_newbcast:14 row_mask:0xf bank_mask:0xf// 000000007C94: 0ABCBCFA FF015E2C
	v_mul_f32_dpp v95, v44, v95 row_newbcast:15 row_mask:0xf bank_mask:0xf// 000000007C9C: 0ABEBEFA FF015F2C
	s_waitcnt vmcnt(12)                                        // 000000007CA4: BF8C0F7C
	buffer_load_dwordx4 a[0:3], v36, s[12:15], 0 offen         // 000000007CA8: E05C1000 80830024
	v_mul_f32_e32 v46, v128, v128                              // 000000007CB0: 0A5D0180
	v_mul_f32_e32 v47, v129, v129                              // 000000007CB4: 0A5F0381
	v_mul_f32_e32 v48, v130, v130                              // 000000007CB8: 0A610582
	v_mul_f32_e32 v49, v131, v131                              // 000000007CBC: 0A630783
	v_fma_f32 v46, v46, s77, v1                                // 000000007CC0: D1CB002E 04049B2E
	v_fma_f32 v47, v47, s77, v1                                // 000000007CC8: D1CB002F 04049B2F
	v_fma_f32 v48, v48, s77, v1                                // 000000007CD0: D1CB0030 04049B30
	v_fma_f32 v49, v49, s77, v1                                // 000000007CD8: D1CB0031 04049B31
	v_mul_f32_e32 v46, v46, v128                               // 000000007CE0: 0A5D012E
	v_mul_f32_e32 v47, v47, v129                               // 000000007CE4: 0A5F032F
	v_mul_f32_e32 v48, v48, v130                               // 000000007CE8: 0A610530
	v_mul_f32_e32 v49, v49, v131                               // 000000007CEC: 0A630731
	v_mul_f32_e64 v46, v46, s6                                 // 000000007CF0: D105002E 00000D2E
	v_mul_f32_e64 v47, v47, s6                                 // 000000007CF8: D105002F 00000D2F
	v_mul_f32_e64 v48, v48, s6                                 // 000000007D00: D1050030 00000D30
	v_mul_f32_e64 v49, v49, s6                                 // 000000007D08: D1050031 00000D31
	v_exp_f32_e32 v46, v46                                     // 000000007D10: 7E5C412E
	v_exp_f32_e32 v47, v47                                     // 000000007D14: 7E5E412F
	v_exp_f32_e32 v48, v48                                     // 000000007D18: 7E604130
	v_exp_f32_e32 v49, v49                                     // 000000007D1C: 7E624131
	buffer_load_dwordx4 a[4:7], v37, s[12:15], 0 offen         // 000000007D20: E05C1000 80830425
	v_add_f32_e64 v46, v46, 1.0                                // 000000007D28: D101002E 0001E52E
	v_add_f32_e64 v47, v47, 1.0                                // 000000007D30: D101002F 0001E52F
	v_add_f32_e64 v48, v48, 1.0                                // 000000007D38: D1010030 0001E530
	v_add_f32_e64 v49, v49, 1.0                                // 000000007D40: D1010031 0001E531
	v_rcp_f32_e32 v46, v46                                     // 000000007D48: 7E5C452E
	v_rcp_f32_e32 v47, v47                                     // 000000007D4C: 7E5E452F
	v_rcp_f32_e32 v48, v48                                     // 000000007D50: 7E604530
	v_rcp_f32_e32 v49, v49                                     // 000000007D54: 7E624531
	v_mul_f32_e32 v128, v128, v46                              // 000000007D58: 0B005D80
	v_mul_f32_e32 v129, v129, v47                              // 000000007D5C: 0B025F81
	v_mul_f32_e32 v130, v130, v48                              // 000000007D60: 0B046182
	v_mul_f32_e32 v131, v131, v49                              // 000000007D64: 0B066383
	v_mul_f32_e32 v128, v128, v64                              // 000000007D68: 0B008180
	v_mul_f32_e32 v129, v129, v65                              // 000000007D6C: 0B028381
	v_mul_f32_e32 v130, v130, v66                              // 000000007D70: 0B048582
	v_mul_f32_e32 v131, v131, v67                              // 000000007D74: 0B068783
	buffer_load_dwordx4 a[8:11], v38, s[12:15], 0 offen        // 000000007D78: E05C1000 80830826
	v_mul_f32_e32 v46, v132, v132                              // 000000007D80: 0A5D0984
	v_mul_f32_e32 v47, v133, v133                              // 000000007D84: 0A5F0B85
	v_mul_f32_e32 v48, v134, v134                              // 000000007D88: 0A610D86
	v_mul_f32_e32 v49, v135, v135                              // 000000007D8C: 0A630F87
	v_fma_f32 v46, v46, s77, v1                                // 000000007D90: D1CB002E 04049B2E
	v_fma_f32 v47, v47, s77, v1                                // 000000007D98: D1CB002F 04049B2F
	v_fma_f32 v48, v48, s77, v1                                // 000000007DA0: D1CB0030 04049B30
	v_fma_f32 v49, v49, s77, v1                                // 000000007DA8: D1CB0031 04049B31
	v_mul_f32_e32 v46, v46, v132                               // 000000007DB0: 0A5D092E
	v_mul_f32_e32 v47, v47, v133                               // 000000007DB4: 0A5F0B2F
	v_mul_f32_e32 v48, v48, v134                               // 000000007DB8: 0A610D30
	v_mul_f32_e32 v49, v49, v135                               // 000000007DBC: 0A630F31
	v_mul_f32_e64 v46, v46, s6                                 // 000000007DC0: D105002E 00000D2E
	v_mul_f32_e64 v47, v47, s6                                 // 000000007DC8: D105002F 00000D2F
	v_mul_f32_e64 v48, v48, s6                                 // 000000007DD0: D1050030 00000D30
	v_mul_f32_e64 v49, v49, s6                                 // 000000007DD8: D1050031 00000D31
	v_exp_f32_e32 v46, v46                                     // 000000007DE0: 7E5C412E
	v_exp_f32_e32 v47, v47                                     // 000000007DE4: 7E5E412F
	v_exp_f32_e32 v48, v48                                     // 000000007DE8: 7E604130
	v_exp_f32_e32 v49, v49                                     // 000000007DEC: 7E624131
	buffer_load_dwordx4 a[12:15], v39, s[12:15], 0 offen       // 000000007DF0: E05C1000 80830C27
	s_add_u32 s12, s78, s12                                    // 000000007DF8: 800C0C4E
	s_addc_u32 s13, 0, s13                                     // 000000007DFC: 820D0D80
	v_add_f32_e64 v46, v46, 1.0                                // 000000007E00: D101002E 0001E52E
	v_add_f32_e64 v47, v47, 1.0                                // 000000007E08: D101002F 0001E52F
	v_add_f32_e64 v48, v48, 1.0                                // 000000007E10: D1010030 0001E530
	v_add_f32_e64 v49, v49, 1.0                                // 000000007E18: D1010031 0001E531
	v_rcp_f32_e32 v46, v46                                     // 000000007E20: 7E5C452E
	v_rcp_f32_e32 v47, v47                                     // 000000007E24: 7E5E452F
	v_rcp_f32_e32 v48, v48                                     // 000000007E28: 7E604530
	v_rcp_f32_e32 v49, v49                                     // 000000007E2C: 7E624531
	v_mul_f32_e32 v132, v132, v46                              // 000000007E30: 0B085D84
	v_mul_f32_e32 v133, v133, v47                              // 000000007E34: 0B0A5F85
	v_mul_f32_e32 v134, v134, v48                              // 000000007E38: 0B0C6186
	v_mul_f32_e32 v135, v135, v49                              // 000000007E3C: 0B0E6387
	v_mul_f32_e32 v132, v132, v68                              // 000000007E40: 0B088984
	v_mul_f32_e32 v133, v133, v69                              // 000000007E44: 0B0A8B85
	v_mul_f32_e32 v134, v134, v70                              // 000000007E48: 0B0C8D86
	v_mul_f32_e32 v135, v135, v71                              // 000000007E4C: 0B0E8F87
	s_waitcnt vmcnt(12)                                        // 000000007E50: BF8C0F7C
	buffer_load_dwordx4 a[16:19], v36, s[12:15], 0 offen       // 000000007E54: E05C1000 80831024
	v_mul_f32_e32 v46, v136, v136                              // 000000007E5C: 0A5D1188
	v_mul_f32_e32 v47, v137, v137                              // 000000007E60: 0A5F1389
	v_mul_f32_e32 v48, v138, v138                              // 000000007E64: 0A61158A
	v_mul_f32_e32 v49, v139, v139                              // 000000007E68: 0A63178B
	v_fma_f32 v46, v46, s77, v1                                // 000000007E6C: D1CB002E 04049B2E
	v_fma_f32 v47, v47, s77, v1                                // 000000007E74: D1CB002F 04049B2F
	v_fma_f32 v48, v48, s77, v1                                // 000000007E7C: D1CB0030 04049B30
	v_fma_f32 v49, v49, s77, v1                                // 000000007E84: D1CB0031 04049B31
	v_mul_f32_e32 v46, v46, v136                               // 000000007E8C: 0A5D112E
	v_mul_f32_e32 v47, v47, v137                               // 000000007E90: 0A5F132F
	v_mul_f32_e32 v48, v48, v138                               // 000000007E94: 0A611530
	v_mul_f32_e32 v49, v49, v139                               // 000000007E98: 0A631731
	v_mul_f32_e64 v46, v46, s6                                 // 000000007E9C: D105002E 00000D2E
	v_mul_f32_e64 v47, v47, s6                                 // 000000007EA4: D105002F 00000D2F
	v_mul_f32_e64 v48, v48, s6                                 // 000000007EAC: D1050030 00000D30
	v_mul_f32_e64 v49, v49, s6                                 // 000000007EB4: D1050031 00000D31
	v_exp_f32_e32 v46, v46                                     // 000000007EBC: 7E5C412E
	v_exp_f32_e32 v47, v47                                     // 000000007EC0: 7E5E412F
	v_exp_f32_e32 v48, v48                                     // 000000007EC4: 7E604130
	v_exp_f32_e32 v49, v49                                     // 000000007EC8: 7E624131
	buffer_load_dwordx4 a[20:23], v37, s[12:15], 0 offen       // 000000007ECC: E05C1000 80831425
	v_add_f32_e64 v46, v46, 1.0                                // 000000007ED4: D101002E 0001E52E
	v_add_f32_e64 v47, v47, 1.0                                // 000000007EDC: D101002F 0001E52F
	v_add_f32_e64 v48, v48, 1.0                                // 000000007EE4: D1010030 0001E530
	v_add_f32_e64 v49, v49, 1.0                                // 000000007EEC: D1010031 0001E531
	v_rcp_f32_e32 v46, v46                                     // 000000007EF4: 7E5C452E
	v_rcp_f32_e32 v47, v47                                     // 000000007EF8: 7E5E452F
	v_rcp_f32_e32 v48, v48                                     // 000000007EFC: 7E604530
	v_rcp_f32_e32 v49, v49                                     // 000000007F00: 7E624531
	v_mul_f32_e32 v136, v136, v46                              // 000000007F04: 0B105D88
	v_mul_f32_e32 v137, v137, v47                              // 000000007F08: 0B125F89
	v_mul_f32_e32 v138, v138, v48                              // 000000007F0C: 0B14618A
	v_mul_f32_e32 v139, v139, v49                              // 000000007F10: 0B16638B
	v_mul_f32_e32 v136, v136, v72                              // 000000007F14: 0B109188
	v_mul_f32_e32 v137, v137, v73                              // 000000007F18: 0B129389
	v_mul_f32_e32 v138, v138, v74                              // 000000007F1C: 0B14958A
	v_mul_f32_e32 v139, v139, v75                              // 000000007F20: 0B16978B
	buffer_load_dwordx4 a[24:27], v38, s[12:15], 0 offen       // 000000007F24: E05C1000 80831826
	v_mul_f32_e32 v46, v140, v140                              // 000000007F2C: 0A5D198C
	v_mul_f32_e32 v47, v141, v141                              // 000000007F30: 0A5F1B8D
	v_mul_f32_e32 v48, v142, v142                              // 000000007F34: 0A611D8E
	v_mul_f32_e32 v49, v143, v143                              // 000000007F38: 0A631F8F
	v_fma_f32 v46, v46, s77, v1                                // 000000007F3C: D1CB002E 04049B2E
	v_fma_f32 v47, v47, s77, v1                                // 000000007F44: D1CB002F 04049B2F
	v_fma_f32 v48, v48, s77, v1                                // 000000007F4C: D1CB0030 04049B30
	v_fma_f32 v49, v49, s77, v1                                // 000000007F54: D1CB0031 04049B31
	v_mul_f32_e32 v46, v46, v140                               // 000000007F5C: 0A5D192E
	v_mul_f32_e32 v47, v47, v141                               // 000000007F60: 0A5F1B2F
	v_mul_f32_e32 v48, v48, v142                               // 000000007F64: 0A611D30
	v_mul_f32_e32 v49, v49, v143                               // 000000007F68: 0A631F31
	v_mul_f32_e64 v46, v46, s6                                 // 000000007F6C: D105002E 00000D2E
	v_mul_f32_e64 v47, v47, s6                                 // 000000007F74: D105002F 00000D2F
	v_mul_f32_e64 v48, v48, s6                                 // 000000007F7C: D1050030 00000D30
	v_mul_f32_e64 v49, v49, s6                                 // 000000007F84: D1050031 00000D31
	v_exp_f32_e32 v46, v46                                     // 000000007F8C: 7E5C412E
	v_exp_f32_e32 v47, v47                                     // 000000007F90: 7E5E412F
	v_exp_f32_e32 v48, v48                                     // 000000007F94: 7E604130
	v_exp_f32_e32 v49, v49                                     // 000000007F98: 7E624131
	buffer_load_dwordx4 a[28:31], v39, s[12:15], 0 offen       // 000000007F9C: E05C1000 80831C27
	s_add_u32 s12, s78, s12                                    // 000000007FA4: 800C0C4E
	s_addc_u32 s13, 0, s13                                     // 000000007FA8: 820D0D80
	v_add_f32_e64 v46, v46, 1.0                                // 000000007FAC: D101002E 0001E52E
	v_add_f32_e64 v47, v47, 1.0                                // 000000007FB4: D101002F 0001E52F
	v_add_f32_e64 v48, v48, 1.0                                // 000000007FBC: D1010030 0001E530
	v_add_f32_e64 v49, v49, 1.0                                // 000000007FC4: D1010031 0001E531
	v_rcp_f32_e32 v46, v46                                     // 000000007FCC: 7E5C452E
	v_rcp_f32_e32 v47, v47                                     // 000000007FD0: 7E5E452F
	v_rcp_f32_e32 v48, v48                                     // 000000007FD4: 7E604530
	v_rcp_f32_e32 v49, v49                                     // 000000007FD8: 7E624531
	v_mul_f32_e32 v140, v140, v46                              // 000000007FDC: 0B185D8C
	v_mul_f32_e32 v141, v141, v47                              // 000000007FE0: 0B1A5F8D
	v_mul_f32_e32 v142, v142, v48                              // 000000007FE4: 0B1C618E
	v_mul_f32_e32 v143, v143, v49                              // 000000007FE8: 0B1E638F
	v_mul_f32_e32 v140, v140, v76                              // 000000007FEC: 0B18998C
	v_mul_f32_e32 v141, v141, v77                              // 000000007FF0: 0B1A9B8D
	v_mul_f32_e32 v142, v142, v78                              // 000000007FF4: 0B1C9D8E
	v_mul_f32_e32 v143, v143, v79                              // 000000007FF8: 0B1E9F8F
	s_waitcnt vmcnt(12)                                        // 000000007FFC: BF8C0F7C
	buffer_load_dwordx4 a[32:35], v36, s[12:15], 0 offen       // 000000008000: E05C1000 80832024
	v_mul_f32_e32 v46, v144, v144                              // 000000008008: 0A5D2190
	v_mul_f32_e32 v47, v145, v145                              // 00000000800C: 0A5F2391
	v_mul_f32_e32 v48, v146, v146                              // 000000008010: 0A612592
	v_mul_f32_e32 v49, v147, v147                              // 000000008014: 0A632793
	v_fma_f32 v46, v46, s77, v1                                // 000000008018: D1CB002E 04049B2E
	v_fma_f32 v47, v47, s77, v1                                // 000000008020: D1CB002F 04049B2F
	v_fma_f32 v48, v48, s77, v1                                // 000000008028: D1CB0030 04049B30
	v_fma_f32 v49, v49, s77, v1                                // 000000008030: D1CB0031 04049B31
	v_mul_f32_e32 v46, v46, v144                               // 000000008038: 0A5D212E
	v_mul_f32_e32 v47, v47, v145                               // 00000000803C: 0A5F232F
	v_mul_f32_e32 v48, v48, v146                               // 000000008040: 0A612530
	v_mul_f32_e32 v49, v49, v147                               // 000000008044: 0A632731
	v_mul_f32_e64 v46, v46, s6                                 // 000000008048: D105002E 00000D2E
	v_mul_f32_e64 v47, v47, s6                                 // 000000008050: D105002F 00000D2F
	v_mul_f32_e64 v48, v48, s6                                 // 000000008058: D1050030 00000D30
	v_mul_f32_e64 v49, v49, s6                                 // 000000008060: D1050031 00000D31
	v_exp_f32_e32 v46, v46                                     // 000000008068: 7E5C412E
	v_exp_f32_e32 v47, v47                                     // 00000000806C: 7E5E412F
	v_exp_f32_e32 v48, v48                                     // 000000008070: 7E604130
	v_exp_f32_e32 v49, v49                                     // 000000008074: 7E624131
	buffer_load_dwordx4 a[36:39], v37, s[12:15], 0 offen       // 000000008078: E05C1000 80832425
	v_add_f32_e64 v46, v46, 1.0                                // 000000008080: D101002E 0001E52E
	v_add_f32_e64 v47, v47, 1.0                                // 000000008088: D101002F 0001E52F
	v_add_f32_e64 v48, v48, 1.0                                // 000000008090: D1010030 0001E530
	v_add_f32_e64 v49, v49, 1.0                                // 000000008098: D1010031 0001E531
	v_rcp_f32_e32 v46, v46                                     // 0000000080A0: 7E5C452E
	v_rcp_f32_e32 v47, v47                                     // 0000000080A4: 7E5E452F
	v_rcp_f32_e32 v48, v48                                     // 0000000080A8: 7E604530
	v_rcp_f32_e32 v49, v49                                     // 0000000080AC: 7E624531
	v_mul_f32_e32 v144, v144, v46                              // 0000000080B0: 0B205D90
	v_mul_f32_e32 v145, v145, v47                              // 0000000080B4: 0B225F91
	v_mul_f32_e32 v146, v146, v48                              // 0000000080B8: 0B246192
	v_mul_f32_e32 v147, v147, v49                              // 0000000080BC: 0B266393
	v_mul_f32_e32 v144, v144, v80                              // 0000000080C0: 0B20A190
	v_mul_f32_e32 v145, v145, v81                              // 0000000080C4: 0B22A391
	v_mul_f32_e32 v146, v146, v82                              // 0000000080C8: 0B24A592
	v_mul_f32_e32 v147, v147, v83                              // 0000000080CC: 0B26A793
	buffer_load_dwordx4 a[40:43], v38, s[12:15], 0 offen       // 0000000080D0: E05C1000 80832826
	v_mul_f32_e32 v46, v148, v148                              // 0000000080D8: 0A5D2994
	v_mul_f32_e32 v47, v149, v149                              // 0000000080DC: 0A5F2B95
	v_mul_f32_e32 v48, v150, v150                              // 0000000080E0: 0A612D96
	v_mul_f32_e32 v49, v151, v151                              // 0000000080E4: 0A632F97
	v_fma_f32 v46, v46, s77, v1                                // 0000000080E8: D1CB002E 04049B2E
	v_fma_f32 v47, v47, s77, v1                                // 0000000080F0: D1CB002F 04049B2F
	v_fma_f32 v48, v48, s77, v1                                // 0000000080F8: D1CB0030 04049B30
	v_fma_f32 v49, v49, s77, v1                                // 000000008100: D1CB0031 04049B31
	v_mul_f32_e32 v46, v46, v148                               // 000000008108: 0A5D292E
	v_mul_f32_e32 v47, v47, v149                               // 00000000810C: 0A5F2B2F
	v_mul_f32_e32 v48, v48, v150                               // 000000008110: 0A612D30
	v_mul_f32_e32 v49, v49, v151                               // 000000008114: 0A632F31
	v_mul_f32_e64 v46, v46, s6                                 // 000000008118: D105002E 00000D2E
	v_mul_f32_e64 v47, v47, s6                                 // 000000008120: D105002F 00000D2F
	v_mul_f32_e64 v48, v48, s6                                 // 000000008128: D1050030 00000D30
	v_mul_f32_e64 v49, v49, s6                                 // 000000008130: D1050031 00000D31
	v_exp_f32_e32 v46, v46                                     // 000000008138: 7E5C412E
	v_exp_f32_e32 v47, v47                                     // 00000000813C: 7E5E412F
	v_exp_f32_e32 v48, v48                                     // 000000008140: 7E604130
	v_exp_f32_e32 v49, v49                                     // 000000008144: 7E624131
	buffer_load_dwordx4 a[44:47], v39, s[12:15], 0 offen       // 000000008148: E05C1000 80832C27
	s_add_u32 s12, s78, s12                                    // 000000008150: 800C0C4E
	s_addc_u32 s13, 0, s13                                     // 000000008154: 820D0D80
	v_add_f32_e64 v46, v46, 1.0                                // 000000008158: D101002E 0001E52E
	v_add_f32_e64 v47, v47, 1.0                                // 000000008160: D101002F 0001E52F
	v_add_f32_e64 v48, v48, 1.0                                // 000000008168: D1010030 0001E530
	v_add_f32_e64 v49, v49, 1.0                                // 000000008170: D1010031 0001E531
	v_rcp_f32_e32 v46, v46                                     // 000000008178: 7E5C452E
	v_rcp_f32_e32 v47, v47                                     // 00000000817C: 7E5E452F
	v_rcp_f32_e32 v48, v48                                     // 000000008180: 7E604530
	v_rcp_f32_e32 v49, v49                                     // 000000008184: 7E624531
	v_mul_f32_e32 v148, v148, v46                              // 000000008188: 0B285D94
	v_mul_f32_e32 v149, v149, v47                              // 00000000818C: 0B2A5F95
	v_mul_f32_e32 v150, v150, v48                              // 000000008190: 0B2C6196
	v_mul_f32_e32 v151, v151, v49                              // 000000008194: 0B2E6397
	v_mul_f32_e32 v148, v148, v84                              // 000000008198: 0B28A994
	v_mul_f32_e32 v149, v149, v85                              // 00000000819C: 0B2AAB95
	v_mul_f32_e32 v150, v150, v86                              // 0000000081A0: 0B2CAD96
	v_mul_f32_e32 v151, v151, v87                              // 0000000081A4: 0B2EAF97
	s_waitcnt vmcnt(12)                                        // 0000000081A8: BF8C0F7C
	buffer_load_dwordx4 a[48:51], v36, s[12:15], 0 offen       // 0000000081AC: E05C1000 80833024
	v_mul_f32_e32 v46, v152, v152                              // 0000000081B4: 0A5D3198
	v_mul_f32_e32 v47, v153, v153                              // 0000000081B8: 0A5F3399
	v_mul_f32_e32 v48, v154, v154                              // 0000000081BC: 0A61359A
	v_mul_f32_e32 v49, v155, v155                              // 0000000081C0: 0A63379B
	v_fma_f32 v46, v46, s77, v1                                // 0000000081C4: D1CB002E 04049B2E
	v_fma_f32 v47, v47, s77, v1                                // 0000000081CC: D1CB002F 04049B2F
	v_fma_f32 v48, v48, s77, v1                                // 0000000081D4: D1CB0030 04049B30
	v_fma_f32 v49, v49, s77, v1                                // 0000000081DC: D1CB0031 04049B31
	v_mul_f32_e32 v46, v46, v152                               // 0000000081E4: 0A5D312E
	v_mul_f32_e32 v47, v47, v153                               // 0000000081E8: 0A5F332F
	v_mul_f32_e32 v48, v48, v154                               // 0000000081EC: 0A613530
	v_mul_f32_e32 v49, v49, v155                               // 0000000081F0: 0A633731
	v_mul_f32_e64 v46, v46, s6                                 // 0000000081F4: D105002E 00000D2E
	v_mul_f32_e64 v47, v47, s6                                 // 0000000081FC: D105002F 00000D2F
	v_mul_f32_e64 v48, v48, s6                                 // 000000008204: D1050030 00000D30
	v_mul_f32_e64 v49, v49, s6                                 // 00000000820C: D1050031 00000D31
	v_exp_f32_e32 v46, v46                                     // 000000008214: 7E5C412E
	v_exp_f32_e32 v47, v47                                     // 000000008218: 7E5E412F
	v_exp_f32_e32 v48, v48                                     // 00000000821C: 7E604130
	v_exp_f32_e32 v49, v49                                     // 000000008220: 7E624131
	buffer_load_dwordx4 a[52:55], v37, s[12:15], 0 offen       // 000000008224: E05C1000 80833425
	v_add_f32_e64 v46, v46, 1.0                                // 00000000822C: D101002E 0001E52E
	v_add_f32_e64 v47, v47, 1.0                                // 000000008234: D101002F 0001E52F
	v_add_f32_e64 v48, v48, 1.0                                // 00000000823C: D1010030 0001E530
	v_add_f32_e64 v49, v49, 1.0                                // 000000008244: D1010031 0001E531
	v_rcp_f32_e32 v46, v46                                     // 00000000824C: 7E5C452E
	v_rcp_f32_e32 v47, v47                                     // 000000008250: 7E5E452F
	v_rcp_f32_e32 v48, v48                                     // 000000008254: 7E604530
	v_rcp_f32_e32 v49, v49                                     // 000000008258: 7E624531
	v_mul_f32_e32 v152, v152, v46                              // 00000000825C: 0B305D98
	v_mul_f32_e32 v153, v153, v47                              // 000000008260: 0B325F99
	v_mul_f32_e32 v154, v154, v48                              // 000000008264: 0B34619A
	v_mul_f32_e32 v155, v155, v49                              // 000000008268: 0B36639B
	v_mul_f32_e32 v152, v152, v88                              // 00000000826C: 0B30B198
	v_mul_f32_e32 v153, v153, v89                              // 000000008270: 0B32B399
	v_mul_f32_e32 v154, v154, v90                              // 000000008274: 0B34B59A
	v_mul_f32_e32 v155, v155, v91                              // 000000008278: 0B36B79B
	buffer_load_dwordx4 a[56:59], v38, s[12:15], 0 offen       // 00000000827C: E05C1000 80833826
	v_mul_f32_e32 v46, v156, v156                              // 000000008284: 0A5D399C
	v_mul_f32_e32 v47, v157, v157                              // 000000008288: 0A5F3B9D
	v_mul_f32_e32 v48, v158, v158                              // 00000000828C: 0A613D9E
	v_mul_f32_e32 v49, v159, v159                              // 000000008290: 0A633F9F
	v_fma_f32 v46, v46, s77, v1                                // 000000008294: D1CB002E 04049B2E
	v_fma_f32 v47, v47, s77, v1                                // 00000000829C: D1CB002F 04049B2F
	v_fma_f32 v48, v48, s77, v1                                // 0000000082A4: D1CB0030 04049B30
	v_fma_f32 v49, v49, s77, v1                                // 0000000082AC: D1CB0031 04049B31
	v_mul_f32_e32 v46, v46, v156                               // 0000000082B4: 0A5D392E
	v_mul_f32_e32 v47, v47, v157                               // 0000000082B8: 0A5F3B2F
	v_mul_f32_e32 v48, v48, v158                               // 0000000082BC: 0A613D30
	v_mul_f32_e32 v49, v49, v159                               // 0000000082C0: 0A633F31
	v_mul_f32_e64 v46, v46, s6                                 // 0000000082C4: D105002E 00000D2E
	v_mul_f32_e64 v47, v47, s6                                 // 0000000082CC: D105002F 00000D2F
	v_mul_f32_e64 v48, v48, s6                                 // 0000000082D4: D1050030 00000D30
	v_mul_f32_e64 v49, v49, s6                                 // 0000000082DC: D1050031 00000D31
	v_exp_f32_e32 v46, v46                                     // 0000000082E4: 7E5C412E
	v_exp_f32_e32 v47, v47                                     // 0000000082E8: 7E5E412F
	v_exp_f32_e32 v48, v48                                     // 0000000082EC: 7E604130
	v_exp_f32_e32 v49, v49                                     // 0000000082F0: 7E624131
	buffer_load_dwordx4 a[60:63], v39, s[12:15], 0 offen       // 0000000082F4: E05C1000 80833C27
	v_add_f32_e64 v46, v46, 1.0                                // 0000000082FC: D101002E 0001E52E
	v_add_f32_e64 v47, v47, 1.0                                // 000000008304: D101002F 0001E52F
	v_add_f32_e64 v48, v48, 1.0                                // 00000000830C: D1010030 0001E530
	v_add_f32_e64 v49, v49, 1.0                                // 000000008314: D1010031 0001E531
	v_rcp_f32_e32 v46, v46                                     // 00000000831C: 7E5C452E
	v_rcp_f32_e32 v47, v47                                     // 000000008320: 7E5E452F
	v_rcp_f32_e32 v48, v48                                     // 000000008324: 7E604530
	v_rcp_f32_e32 v49, v49                                     // 000000008328: 7E624531
	v_mul_f32_e32 v156, v156, v46                              // 00000000832C: 0B385D9C
	v_mul_f32_e32 v157, v157, v47                              // 000000008330: 0B3A5F9D
	v_mul_f32_e32 v158, v158, v48                              // 000000008334: 0B3C619E
	v_mul_f32_e32 v159, v159, v49                              // 000000008338: 0B3E639F
	v_mul_f32_e32 v156, v156, v92                              // 00000000833C: 0B38B99C
	v_mul_f32_e32 v157, v157, v93                              // 000000008340: 0B3ABB9D
	v_mul_f32_e32 v158, v158, v94                              // 000000008344: 0B3CBD9E
	v_mul_f32_e32 v159, v159, v95                              // 000000008348: 0B3EBF9F
	v_mul_f32_dpp v128, v16, v128 row_newbcast:0 row_mask:0xf bank_mask:0xf// 00000000834C: 0B0100FA FF015010
	v_mul_f32_dpp v129, v16, v129 row_newbcast:1 row_mask:0xf bank_mask:0xf// 000000008354: 0B0302FA FF015110
	v_mul_f32_dpp v130, v16, v130 row_newbcast:2 row_mask:0xf bank_mask:0xf// 00000000835C: 0B0504FA FF015210
	v_mul_f32_dpp v131, v16, v131 row_newbcast:3 row_mask:0xf bank_mask:0xf// 000000008364: 0B0706FA FF015310
	v_mul_f32_dpp v132, v16, v132 row_newbcast:0 row_mask:0xf bank_mask:0xf// 00000000836C: 0B0908FA FF015010
	v_mul_f32_dpp v133, v16, v133 row_newbcast:1 row_mask:0xf bank_mask:0xf// 000000008374: 0B0B0AFA FF015110
	v_mul_f32_dpp v134, v16, v134 row_newbcast:2 row_mask:0xf bank_mask:0xf// 00000000837C: 0B0D0CFA FF015210
	v_mul_f32_dpp v135, v16, v135 row_newbcast:3 row_mask:0xf bank_mask:0xf// 000000008384: 0B0F0EFA FF015310
	v_mul_f32_dpp v136, v16, v136 row_newbcast:4 row_mask:0xf bank_mask:0xf// 00000000838C: 0B1110FA FF015410
	v_mul_f32_dpp v137, v16, v137 row_newbcast:5 row_mask:0xf bank_mask:0xf// 000000008394: 0B1312FA FF015510
	v_mul_f32_dpp v138, v16, v138 row_newbcast:6 row_mask:0xf bank_mask:0xf// 00000000839C: 0B1514FA FF015610
	v_mul_f32_dpp v139, v16, v139 row_newbcast:7 row_mask:0xf bank_mask:0xf// 0000000083A4: 0B1716FA FF015710
	v_mul_f32_dpp v140, v16, v140 row_newbcast:4 row_mask:0xf bank_mask:0xf// 0000000083AC: 0B1918FA FF015410
	v_mul_f32_dpp v141, v16, v141 row_newbcast:5 row_mask:0xf bank_mask:0xf// 0000000083B4: 0B1B1AFA FF015510
	v_mul_f32_dpp v142, v16, v142 row_newbcast:6 row_mask:0xf bank_mask:0xf// 0000000083BC: 0B1D1CFA FF015610
	v_mul_f32_dpp v143, v16, v143 row_newbcast:7 row_mask:0xf bank_mask:0xf// 0000000083C4: 0B1F1EFA FF015710
	v_mul_f32_dpp v144, v16, v144 row_newbcast:8 row_mask:0xf bank_mask:0xf// 0000000083CC: 0B2120FA FF015810
	v_mul_f32_dpp v145, v16, v145 row_newbcast:9 row_mask:0xf bank_mask:0xf// 0000000083D4: 0B2322FA FF015910
	v_mul_f32_dpp v146, v16, v146 row_newbcast:10 row_mask:0xf bank_mask:0xf// 0000000083DC: 0B2524FA FF015A10
	v_mul_f32_dpp v147, v16, v147 row_newbcast:11 row_mask:0xf bank_mask:0xf// 0000000083E4: 0B2726FA FF015B10
	v_mul_f32_dpp v148, v16, v148 row_newbcast:8 row_mask:0xf bank_mask:0xf// 0000000083EC: 0B2928FA FF015810
	v_mul_f32_dpp v149, v16, v149 row_newbcast:9 row_mask:0xf bank_mask:0xf// 0000000083F4: 0B2B2AFA FF015910
	v_mul_f32_dpp v150, v16, v150 row_newbcast:10 row_mask:0xf bank_mask:0xf// 0000000083FC: 0B2D2CFA FF015A10
	v_mul_f32_dpp v151, v16, v151 row_newbcast:11 row_mask:0xf bank_mask:0xf// 000000008404: 0B2F2EFA FF015B10
	v_mul_f32_dpp v152, v16, v152 row_newbcast:12 row_mask:0xf bank_mask:0xf// 00000000840C: 0B3130FA FF015C10
	v_mul_f32_dpp v153, v16, v153 row_newbcast:13 row_mask:0xf bank_mask:0xf// 000000008414: 0B3332FA FF015D10
	v_mul_f32_dpp v154, v16, v154 row_newbcast:14 row_mask:0xf bank_mask:0xf// 00000000841C: 0B3534FA FF015E10
	v_mul_f32_dpp v155, v16, v155 row_newbcast:15 row_mask:0xf bank_mask:0xf// 000000008424: 0B3736FA FF015F10
	v_mul_f32_dpp v156, v16, v156 row_newbcast:12 row_mask:0xf bank_mask:0xf// 00000000842C: 0B3938FA FF015C10
	v_mul_f32_dpp v157, v16, v157 row_newbcast:13 row_mask:0xf bank_mask:0xf// 000000008434: 0B3B3AFA FF015D10
	v_mul_f32_dpp v158, v16, v158 row_newbcast:14 row_mask:0xf bank_mask:0xf// 00000000843C: 0B3D3CFA FF015E10
	v_mul_f32_dpp v159, v16, v159 row_newbcast:15 row_mask:0xf bank_mask:0xf// 000000008444: 0B3F3EFA FF015F10
	v_lshlrev_b32_e32 v46, 2, v0                               // 00000000844C: 245C0082
	s_mul_i32 s60, s82, s71                                    // 000000008450: 923C4752
	v_add_u32_e64 v80, v46, s60                                // 000000008454: D1340050 0000792E
	v_mov_b32_e32 v81, 0                                       // 00000000845C: 7EA20280
	s_mul_i32 s60, s83, s71                                    // 000000008460: 923C4753
	v_add_u32_e64 v82, v46, s60                                // 000000008464: D1340052 0000792E
	v_mov_b32_e32 v83, 0                                       // 00000000846C: 7EA60280
	s_mul_i32 s60, s84, s71                                    // 000000008470: 923C4754
	v_add_u32_e64 v84, v46, s60                                // 000000008474: D1340054 0000792E
	v_mov_b32_e32 v85, 0                                       // 00000000847C: 7EAA0280
	s_mul_i32 s60, s85, s71                                    // 000000008480: 923C4755
	v_add_u32_e64 v86, v46, s60                                // 000000008484: D1340056 0000792E
	v_mov_b32_e32 v87, 0                                       // 00000000848C: 7EAE0280
	s_mul_i32 s60, s86, s71                                    // 000000008490: 923C4756
	v_add_u32_e64 v88, v46, s60                                // 000000008494: D1340058 0000792E
	v_mov_b32_e32 v89, 0                                       // 00000000849C: 7EB20280
	s_mul_i32 s60, s87, s71                                    // 0000000084A0: 923C4757
	v_add_u32_e64 v90, v46, s60                                // 0000000084A4: D134005A 0000792E
	v_mov_b32_e32 v91, 0                                       // 0000000084AC: 7EB60280
	s_mul_i32 s60, s88, s71                                    // 0000000084B0: 923C4758
	v_add_u32_e64 v92, v46, s60                                // 0000000084B4: D134005C 0000792E
	v_mov_b32_e32 v93, 0                                       // 0000000084BC: 7EBA0280
	s_mul_i32 s60, s89, s71                                    // 0000000084C0: 923C4759
	v_add_u32_e64 v94, v46, s60                                // 0000000084C4: D134005E 0000792E
	v_mov_b32_e32 v95, 0                                       // 0000000084CC: 7EBE0280
	buffer_load_dword v11, v5, s[16:19], 0 offen               // 0000000084D0: E0501000 80040B05
	v_mov_b32_e32 v20, 0x358637bd                              // 0000000084D8: 7E2802FF 358637BD
	v_mov_b32_e32 v21, 0x358637bd                              // 0000000084E0: 7E2A02FF 358637BD
	v_max3_f32 v20, |v128|, |v129|, v20                        // 0000000084E8: D1D30314 04530380
	v_max3_f32 v20, |v130|, |v131|, v20                        // 0000000084F0: D1D30314 04530782
	v_max3_f32 v21, |v132|, |v133|, v21                        // 0000000084F8: D1D30315 04570B84
	v_max3_f32 v21, |v134|, |v135|, v21                        // 000000008500: D1D30315 04570F86
	v_max3_f32 v20, |v136|, |v137|, v20                        // 000000008508: D1D30314 04531388
	v_max3_f32 v20, |v138|, |v139|, v20                        // 000000008510: D1D30314 0453178A
	v_max3_f32 v21, |v140|, |v141|, v21                        // 000000008518: D1D30315 04571B8C
	v_max3_f32 v21, |v142|, |v143|, v21                        // 000000008520: D1D30315 04571F8E
	v_max3_f32 v20, |v144|, |v145|, v20                        // 000000008528: D1D30314 04532390
	v_max3_f32 v20, |v146|, |v147|, v20                        // 000000008530: D1D30314 04532792
	v_max3_f32 v21, |v148|, |v149|, v21                        // 000000008538: D1D30315 04572B94
	v_max3_f32 v21, |v150|, |v151|, v21                        // 000000008540: D1D30315 04572F96
	v_max3_f32 v20, |v152|, |v153|, v20                        // 000000008548: D1D30314 04533398
	v_max3_f32 v20, |v154|, |v155|, v20                        // 000000008550: D1D30314 0453379A
	v_max3_f32 v21, |v156|, |v157|, v21                        // 000000008558: D1D30315 04573B9C
	v_max3_f32 v21, |v158|, |v159|, v21                        // 000000008560: D1D30315 04573F9E
	v_lshlrev_b32_e32 v46, 3, v0                               // 000000008568: 245C0083
	s_mul_i32 s60, 0x200, s7                                   // 00000000856C: 923C07FF 00000200
	v_add_u32_e32 v46, s60, v46                                // 000000008574: 685C5C3C
	ds_write_b64 v46, v[20:21] offset:16640                    // 000000008578: D89A4100 0000142E
	s_waitcnt lgkmcnt(0)                                       // 000000008580: BF8CC07F
	s_barrier                                                  // 000000008584: BF8A0000
	v_and_b32_e32 v46, 15, v0                                  // 000000008588: 265C008F
	v_lshlrev_b32_e32 v46, 3, v46                              // 00000000858C: 245C5C83
	ds_read_b64 v[96:97], v46 offset:16640                     // 000000008590: D8EC4100 6000002E
	ds_read_b64 v[98:99], v46 offset:16768                     // 000000008598: D8EC4180 6200002E
	ds_read_b64 v[100:101], v46 offset:16896                   // 0000000085A0: D8EC4200 6400002E
	ds_read_b64 v[102:103], v46 offset:17024                   // 0000000085A8: D8EC4280 6600002E
	ds_read_b64 v[104:105], v46 offset:17152                   // 0000000085B0: D8EC4300 6800002E
	ds_read_b64 v[106:107], v46 offset:17280                   // 0000000085B8: D8EC4380 6A00002E
	ds_read_b64 v[108:109], v46 offset:17408                   // 0000000085C0: D8EC4400 6C00002E
	ds_read_b64 v[110:111], v46 offset:17536                   // 0000000085C8: D8EC4480 6E00002E
	ds_read_b64 v[112:113], v46 offset:17664                   // 0000000085D0: D8EC4500 7000002E
	ds_read_b64 v[114:115], v46 offset:17792                   // 0000000085D8: D8EC4580 7200002E
	ds_read_b64 v[116:117], v46 offset:17920                   // 0000000085E0: D8EC4600 7400002E
	ds_read_b64 v[118:119], v46 offset:18048                   // 0000000085E8: D8EC4680 7600002E
	ds_read_b64 v[120:121], v46 offset:18176                   // 0000000085F0: D8EC4700 7800002E
	ds_read_b64 v[122:123], v46 offset:18304                   // 0000000085F8: D8EC4780 7A00002E
	ds_read_b64 v[124:125], v46 offset:18432                   // 000000008600: D8EC4800 7C00002E
	ds_read_b64 v[126:127], v46 offset:18560                   // 000000008608: D8EC4880 7E00002E
	s_waitcnt lgkmcnt(0)                                       // 000000008610: BF8CC07F
	v_max3_f32 v20, |v96|, |v98|, v20                          // 000000008614: D1D30314 0452C560
	v_max3_f32 v21, |v97|, |v99|, v21                          // 00000000861C: D1D30315 0456C761
	v_max3_f32 v20, |v100|, |v102|, v20                        // 000000008624: D1D30314 0452CD64
	v_max3_f32 v21, |v101|, |v103|, v21                        // 00000000862C: D1D30315 0456CF65
	v_max3_f32 v20, |v104|, |v106|, v20                        // 000000008634: D1D30314 0452D568
	v_max3_f32 v21, |v105|, |v107|, v21                        // 00000000863C: D1D30315 0456D769
	v_max3_f32 v20, |v108|, |v110|, v20                        // 000000008644: D1D30314 0452DD6C
	v_max3_f32 v21, |v109|, |v111|, v21                        // 00000000864C: D1D30315 0456DF6D
	v_max3_f32 v20, |v112|, |v114|, v20                        // 000000008654: D1D30314 0452E570
	v_max3_f32 v21, |v113|, |v115|, v21                        // 00000000865C: D1D30315 0456E771
	v_max3_f32 v20, |v116|, |v118|, v20                        // 000000008664: D1D30314 0452ED74
	v_max3_f32 v21, |v117|, |v119|, v21                        // 00000000866C: D1D30315 0456EF75
	v_max3_f32 v20, |v120|, |v122|, v20                        // 000000008674: D1D30314 0452F578
	v_max3_f32 v21, |v121|, |v123|, v21                        // 00000000867C: D1D30315 0456F779
	v_max3_f32 v20, |v124|, |v126|, v20                        // 000000008684: D1D30314 0452FD7C
	v_max3_f32 v21, |v125|, |v127|, v21                        // 00000000868C: D1D30315 0456FF7D
	v_rcp_f32_e32 v20, v20                                     // 000000008694: 7E284514
	v_rcp_f32_e32 v21, v21                                     // 000000008698: 7E2A4515
	v_mul_f32_e32 v20, 0x42fe0000, v20                         // 00000000869C: 0A2828FF 42FE0000
	v_mul_f32_e32 v21, 0x42fe0000, v21                         // 0000000086A4: 0A2A2AFF 42FE0000
	v_mul_f32_e32 v128, v20, v128                              // 0000000086AC: 0B010114
	v_mul_f32_e32 v129, v20, v129                              // 0000000086B0: 0B030314
	v_mul_f32_e32 v130, v20, v130                              // 0000000086B4: 0B050514
	v_mul_f32_e32 v131, v20, v131                              // 0000000086B8: 0B070714
	v_cvt_i32_f32_e32 v128, v128                               // 0000000086BC: 7F001180
	v_cvt_i32_f32_e32 v129, v129                               // 0000000086C0: 7F021181
	v_cvt_i32_f32_e32 v130, v130                               // 0000000086C4: 7F041182
	v_cvt_i32_f32_e32 v131, v131                               // 0000000086C8: 7F061183
	v_perm_b32 v128, v129, v128, s53                           // 0000000086CC: D1ED0080 00D70181
	v_perm_b32 v128, v130, v128, s54                           // 0000000086D4: D1ED0080 00DB0182
	v_perm_b32 v128, v131, v128, s55                           // 0000000086DC: D1ED0080 00DF0183
	v_mul_f32_e32 v132, v21, v132                              // 0000000086E4: 0B090915
	v_mul_f32_e32 v133, v21, v133                              // 0000000086E8: 0B0B0B15
	v_mul_f32_e32 v134, v21, v134                              // 0000000086EC: 0B0D0D15
	v_mul_f32_e32 v135, v21, v135                              // 0000000086F0: 0B0F0F15
	v_cvt_i32_f32_e32 v132, v132                               // 0000000086F4: 7F081184
	v_cvt_i32_f32_e32 v133, v133                               // 0000000086F8: 7F0A1185
	v_cvt_i32_f32_e32 v134, v134                               // 0000000086FC: 7F0C1186
	v_cvt_i32_f32_e32 v135, v135                               // 000000008700: 7F0E1187
	v_perm_b32 v129, v133, v132, s53                           // 000000008704: D1ED0081 00D70985
	v_perm_b32 v129, v134, v129, s54                           // 00000000870C: D1ED0081 00DB0386
	v_perm_b32 v129, v135, v129, s55                           // 000000008714: D1ED0081 00DF0387
	v_mul_f32_e32 v136, v20, v136                              // 00000000871C: 0B111114
	v_mul_f32_e32 v137, v20, v137                              // 000000008720: 0B131314
	v_mul_f32_e32 v138, v20, v138                              // 000000008724: 0B151514
	v_mul_f32_e32 v139, v20, v139                              // 000000008728: 0B171714
	v_cvt_i32_f32_e32 v136, v136                               // 00000000872C: 7F101188
	v_cvt_i32_f32_e32 v137, v137                               // 000000008730: 7F121189
	v_cvt_i32_f32_e32 v138, v138                               // 000000008734: 7F14118A
	v_cvt_i32_f32_e32 v139, v139                               // 000000008738: 7F16118B
	v_perm_b32 v130, v137, v136, s53                           // 00000000873C: D1ED0082 00D71189
	v_perm_b32 v130, v138, v130, s54                           // 000000008744: D1ED0082 00DB058A
	v_perm_b32 v130, v139, v130, s55                           // 00000000874C: D1ED0082 00DF058B
	v_mul_f32_e32 v140, v21, v140                              // 000000008754: 0B191915
	v_mul_f32_e32 v141, v21, v141                              // 000000008758: 0B1B1B15
	v_mul_f32_e32 v142, v21, v142                              // 00000000875C: 0B1D1D15
	v_mul_f32_e32 v143, v21, v143                              // 000000008760: 0B1F1F15
	v_cvt_i32_f32_e32 v140, v140                               // 000000008764: 7F18118C
	v_cvt_i32_f32_e32 v141, v141                               // 000000008768: 7F1A118D
	v_cvt_i32_f32_e32 v142, v142                               // 00000000876C: 7F1C118E
	v_cvt_i32_f32_e32 v143, v143                               // 000000008770: 7F1E118F
	v_perm_b32 v131, v141, v140, s53                           // 000000008774: D1ED0083 00D7198D
	v_perm_b32 v131, v142, v131, s54                           // 00000000877C: D1ED0083 00DB078E
	v_perm_b32 v131, v143, v131, s55                           // 000000008784: D1ED0083 00DF078F
	v_mul_f32_e32 v144, v20, v144                              // 00000000878C: 0B212114
	v_mul_f32_e32 v145, v20, v145                              // 000000008790: 0B232314
	v_mul_f32_e32 v146, v20, v146                              // 000000008794: 0B252514
	v_mul_f32_e32 v147, v20, v147                              // 000000008798: 0B272714
	v_cvt_i32_f32_e32 v144, v144                               // 00000000879C: 7F201190
	v_cvt_i32_f32_e32 v145, v145                               // 0000000087A0: 7F221191
	v_cvt_i32_f32_e32 v146, v146                               // 0000000087A4: 7F241192
	v_cvt_i32_f32_e32 v147, v147                               // 0000000087A8: 7F261193
	v_perm_b32 v132, v145, v144, s53                           // 0000000087AC: D1ED0084 00D72191
	v_perm_b32 v132, v146, v132, s54                           // 0000000087B4: D1ED0084 00DB0992
	v_perm_b32 v132, v147, v132, s55                           // 0000000087BC: D1ED0084 00DF0993
	v_mul_f32_e32 v148, v21, v148                              // 0000000087C4: 0B292915
	v_mul_f32_e32 v149, v21, v149                              // 0000000087C8: 0B2B2B15
	v_mul_f32_e32 v150, v21, v150                              // 0000000087CC: 0B2D2D15
	v_mul_f32_e32 v151, v21, v151                              // 0000000087D0: 0B2F2F15
	v_cvt_i32_f32_e32 v148, v148                               // 0000000087D4: 7F281194
	v_cvt_i32_f32_e32 v149, v149                               // 0000000087D8: 7F2A1195
	v_cvt_i32_f32_e32 v150, v150                               // 0000000087DC: 7F2C1196
	v_cvt_i32_f32_e32 v151, v151                               // 0000000087E0: 7F2E1197
	v_perm_b32 v133, v149, v148, s53                           // 0000000087E4: D1ED0085 00D72995
	v_perm_b32 v133, v150, v133, s54                           // 0000000087EC: D1ED0085 00DB0B96
	v_perm_b32 v133, v151, v133, s55                           // 0000000087F4: D1ED0085 00DF0B97
	v_mul_f32_e32 v152, v20, v152                              // 0000000087FC: 0B313114
	v_mul_f32_e32 v153, v20, v153                              // 000000008800: 0B333314
	v_mul_f32_e32 v154, v20, v154                              // 000000008804: 0B353514
	v_mul_f32_e32 v155, v20, v155                              // 000000008808: 0B373714
	v_cvt_i32_f32_e32 v152, v152                               // 00000000880C: 7F301198
	v_cvt_i32_f32_e32 v153, v153                               // 000000008810: 7F321199
	v_cvt_i32_f32_e32 v154, v154                               // 000000008814: 7F34119A
	v_cvt_i32_f32_e32 v155, v155                               // 000000008818: 7F36119B
	v_perm_b32 v134, v153, v152, s53                           // 00000000881C: D1ED0086 00D73199
	v_perm_b32 v134, v154, v134, s54                           // 000000008824: D1ED0086 00DB0D9A
	v_perm_b32 v134, v155, v134, s55                           // 00000000882C: D1ED0086 00DF0D9B
	v_mul_f32_e32 v156, v21, v156                              // 000000008834: 0B393915
	v_mul_f32_e32 v157, v21, v157                              // 000000008838: 0B3B3B15
	v_mul_f32_e32 v158, v21, v158                              // 00000000883C: 0B3D3D15
	v_mul_f32_e32 v159, v21, v159                              // 000000008840: 0B3F3F15
	v_cvt_i32_f32_e32 v156, v156                               // 000000008844: 7F38119C
	v_cvt_i32_f32_e32 v157, v157                               // 000000008848: 7F3A119D
	v_cvt_i32_f32_e32 v158, v158                               // 00000000884C: 7F3C119E
	v_cvt_i32_f32_e32 v159, v159                               // 000000008850: 7F3E119F
	v_perm_b32 v135, v157, v156, s53                           // 000000008854: D1ED0087 00D7399D
	v_perm_b32 v135, v158, v135, s54                           // 00000000885C: D1ED0087 00DB0F9E
	v_perm_b32 v135, v159, v135, s55                           // 000000008864: D1ED0087 00DF0F9F
	v_rcp_f32_e32 v22, v20                                     // 00000000886C: 7E2C4514
	v_rcp_f32_e32 v23, v21                                     // 000000008870: 7E2E4515
	v_lshrrev_b32_e32 v46, 5, v0                               // 000000008874: 205C0085
	v_lshlrev_b32_e32 v47, 5, v46                              // 000000008878: 245E5C85
	v_and_b32_e32 v46, 31, v0                                  // 00000000887C: 265C009F
	v_lshrrev_b32_e32 v48, 4, v46                              // 000000008880: 20605C84
	v_add_u32_e32 v47, v48, v47                                // 000000008884: 685E5F30
	v_and_b32_e32 v46, 15, v0                                  // 000000008888: 265C008F
	v_lshlrev_b32_e32 v46, 1, v46                              // 00000000888C: 245C5C81
	v_add_u32_e32 v47, v46, v47                                // 000000008890: 685E5F2E
	v_lshlrev_b32_e32 v46, 2, v47                              // 000000008894: 245C5E82
	s_mul_i32 s60, 0x100, s7                                   // 000000008898: 923C07FF 00000100
	v_add_u32_e64 v46, v46, s60                                // 0000000088A0: D134002E 0000792E
	ds_write_b32 v46, v128 offset:18688                        // 0000000088A8: D81A4900 0000802E
	ds_write_b32 v46, v129 offset:22784                        // 0000000088B0: D81A5900 0000812E
	ds_write_b32 v46, v130 offset:19712                        // 0000000088B8: D81A4D00 0000822E
	ds_write_b32 v46, v131 offset:23808                        // 0000000088C0: D81A5D00 0000832E
	ds_write_b32 v46, v132 offset:20736                        // 0000000088C8: D81A5100 0000842E
	ds_write_b32 v46, v133 offset:24832                        // 0000000088D0: D81A6100 0000852E
	ds_write_b32 v46, v134 offset:21760                        // 0000000088D8: D81A5500 0000862E
	ds_write_b32 v46, v135 offset:25856                        // 0000000088E0: D81A6500 0000872E
	s_waitcnt lgkmcnt(0)                                       // 0000000088E8: BF8CC07F
	s_barrier                                                  // 0000000088EC: BF8A0000
	v_lshrrev_b32_e32 v46, 4, v0                               // 0000000088F0: 205C0084
	v_lshlrev_b32_e32 v47, 6, v46                              // 0000000088F4: 245E5C86
	v_and_b32_e32 v46, 15, v0                                  // 0000000088F8: 265C008F
	v_lshlrev_b32_e32 v46, 1, v46                              // 0000000088FC: 245C5C81
	v_add_u32_e32 v47, v46, v47                                // 000000008900: 685E5F2E
	v_lshlrev_b32_e32 v46, 2, v47                              // 000000008904: 245C5E82
	ds_read_b64 v[128:129], v46 offset:18688                   // 000000008908: D8EC4900 8000002E
	ds_read_b64 v[130:131], v46 offset:18816                   // 000000008910: D8EC4980 8200002E
	ds_read_b64 v[132:133], v46 offset:19712                   // 000000008918: D8EC4D00 8400002E
	ds_read_b64 v[134:135], v46 offset:19840                   // 000000008920: D8EC4D80 8600002E
	ds_read_b64 v[136:137], v46 offset:20736                   // 000000008928: D8EC5100 8800002E
	ds_read_b64 v[138:139], v46 offset:20864                   // 000000008930: D8EC5180 8A00002E
	ds_read_b64 v[140:141], v46 offset:21760                   // 000000008938: D8EC5500 8C00002E
	ds_read_b64 v[142:143], v46 offset:21888                   // 000000008940: D8EC5580 8E00002E
	ds_read_b64 v[144:145], v46 offset:22784                   // 000000008948: D8EC5900 9000002E
	ds_read_b64 v[146:147], v46 offset:22912                   // 000000008950: D8EC5980 9200002E
	ds_read_b64 v[148:149], v46 offset:23808                   // 000000008958: D8EC5D00 9400002E
	ds_read_b64 v[150:151], v46 offset:23936                   // 000000008960: D8EC5D80 9600002E
	ds_read_b64 v[152:153], v46 offset:24832                   // 000000008968: D8EC6100 9800002E
	ds_read_b64 v[154:155], v46 offset:24960                   // 000000008970: D8EC6180 9A00002E
	ds_read_b64 v[156:157], v46 offset:25856                   // 000000008978: D8EC6500 9C00002E
	ds_read_b64 v[158:159], v46 offset:25984                   // 000000008980: D8EC6580 9E00002E
	s_add_u32 s12, s56, s12                                    // 000000008988: 800C0C38
	s_addc_u32 s13, 0, s13                                     // 00000000898C: 820D0D80
	s_add_u32 s16, s79, s16                                    // 000000008990: 8010104F
	s_addc_u32 s17, 0, s17                                     // 000000008994: 82111180
	s_mov_b32 s80, 0                                           // 000000008998: BED00080
	s_waitcnt vmcnt(0) expcnt(0) lgkmcnt(0)                    // 00000000899C: BF8C0000

00000000000089a0 <label_16E8>:
	s_waitcnt vmcnt(29)                                        // 0000000089A0: BF8C4F7D
	s_barrier                                                  // 0000000089A4: BF8A0000
	v_mfma_i32_16x16x32_i8 v[160:163], a[0:1], v[128:129], 0   // 0000000089A8: D3D700A0 0A030100
	buffer_load_dwordx4 a[64:67], v36, s[12:15], 0 offen       // 0000000089B0: E05C1000 80834024
	v_mfma_i32_16x16x32_i8 v[160:163], a[2:3], v[130:131], v[160:163]// 0000000089B8: D3D700A0 0E830502
	v_mfma_i32_16x16x32_i8 v[164:167], a[0:1], v[144:145], 0   // 0000000089C0: D3D700A4 0A032100
	v_mfma_i32_16x16x32_i8 v[164:167], a[2:3], v[146:147], v[164:167]// 0000000089C8: D3D700A4 0E932502
	v_mfma_i32_16x16x32_i8 v[168:171], a[4:5], v[128:129], 0   // 0000000089D0: D3D700A8 0A030104
	buffer_load_dwordx4 a[68:71], v37, s[12:15], 0 offen       // 0000000089D8: E05C1000 80834425
	v_mfma_i32_16x16x32_i8 v[168:171], a[6:7], v[130:131], v[168:171]// 0000000089E0: D3D700A8 0EA30506
	v_mfma_i32_16x16x32_i8 v[172:175], a[4:5], v[144:145], 0   // 0000000089E8: D3D700AC 0A032104
	v_mfma_i32_16x16x32_i8 v[172:175], a[6:7], v[146:147], v[172:175]// 0000000089F0: D3D700AC 0EB32506
	v_mfma_i32_16x16x32_i8 v[176:179], a[8:9], v[128:129], 0   // 0000000089F8: D3D700B0 0A030108
	buffer_load_dwordx4 a[72:75], v38, s[12:15], 0 offen       // 000000008A00: E05C1000 80834826
	v_mfma_i32_16x16x32_i8 v[176:179], a[10:11], v[130:131], v[176:179]// 000000008A08: D3D700B0 0EC3050A
	v_mfma_i32_16x16x32_i8 v[180:183], a[8:9], v[144:145], 0   // 000000008A10: D3D700B4 0A032108
	v_mfma_i32_16x16x32_i8 v[180:183], a[10:11], v[146:147], v[180:183]// 000000008A18: D3D700B4 0ED3250A
	v_mfma_i32_16x16x32_i8 v[184:187], a[12:13], v[128:129], 0 // 000000008A20: D3D700B8 0A03010C
	buffer_load_dwordx4 a[76:79], v39, s[12:15], 0 offen       // 000000008A28: E05C1000 80834C27
	s_add_u32 s12, s78, s12                                    // 000000008A30: 800C0C4E
	s_addc_u32 s13, 0, s13                                     // 000000008A34: 820D0D80
	v_mfma_i32_16x16x32_i8 v[184:187], a[14:15], v[130:131], v[184:187]// 000000008A38: D3D700B8 0EE3050E
	v_mfma_i32_16x16x32_i8 v[188:191], a[12:13], v[144:145], 0 // 000000008A40: D3D700BC 0A03210C
	v_mfma_i32_16x16x32_i8 v[188:191], a[14:15], v[146:147], v[188:191]// 000000008A48: D3D700BC 0EF3250E
	s_waitcnt vmcnt(29)                                        // 000000008A50: BF8C4F7D
	v_mfma_i32_16x16x32_i8 v[160:163], a[16:17], v[132:133], v[160:163]// 000000008A54: D3D700A0 0E830910
	buffer_load_dwordx4 a[80:83], v36, s[12:15], 0 offen       // 000000008A5C: E05C1000 80835024
	v_mfma_i32_16x16x32_i8 v[160:163], a[18:19], v[134:135], v[160:163]// 000000008A64: D3D700A0 0E830D12
	v_mfma_i32_16x16x32_i8 v[164:167], a[16:17], v[148:149], v[164:167]// 000000008A6C: D3D700A4 0E932910
	v_mfma_i32_16x16x32_i8 v[164:167], a[18:19], v[150:151], v[164:167]// 000000008A74: D3D700A4 0E932D12
	v_mfma_i32_16x16x32_i8 v[168:171], a[20:21], v[132:133], v[168:171]// 000000008A7C: D3D700A8 0EA30914
	buffer_load_dwordx4 a[84:87], v37, s[12:15], 0 offen       // 000000008A84: E05C1000 80835425
	v_mfma_i32_16x16x32_i8 v[168:171], a[22:23], v[134:135], v[168:171]// 000000008A8C: D3D700A8 0EA30D16
	v_mfma_i32_16x16x32_i8 v[172:175], a[20:21], v[148:149], v[172:175]// 000000008A94: D3D700AC 0EB32914
	v_mfma_i32_16x16x32_i8 v[172:175], a[22:23], v[150:151], v[172:175]// 000000008A9C: D3D700AC 0EB32D16
	v_mfma_i32_16x16x32_i8 v[176:179], a[24:25], v[132:133], v[176:179]// 000000008AA4: D3D700B0 0EC30918
	buffer_load_dwordx4 a[88:91], v38, s[12:15], 0 offen       // 000000008AAC: E05C1000 80835826
	v_mfma_i32_16x16x32_i8 v[176:179], a[26:27], v[134:135], v[176:179]// 000000008AB4: D3D700B0 0EC30D1A
	v_mfma_i32_16x16x32_i8 v[180:183], a[24:25], v[148:149], v[180:183]// 000000008ABC: D3D700B4 0ED32918
	v_mfma_i32_16x16x32_i8 v[180:183], a[26:27], v[150:151], v[180:183]// 000000008AC4: D3D700B4 0ED32D1A
	v_mfma_i32_16x16x32_i8 v[184:187], a[28:29], v[132:133], v[184:187]// 000000008ACC: D3D700B8 0EE3091C
	buffer_load_dwordx4 a[92:95], v39, s[12:15], 0 offen       // 000000008AD4: E05C1000 80835C27
	s_add_u32 s12, s78, s12                                    // 000000008ADC: 800C0C4E
	s_addc_u32 s13, 0, s13                                     // 000000008AE0: 820D0D80
	v_mfma_i32_16x16x32_i8 v[184:187], a[30:31], v[134:135], v[184:187]// 000000008AE4: D3D700B8 0EE30D1E
	v_mfma_i32_16x16x32_i8 v[188:191], a[28:29], v[148:149], v[188:191]// 000000008AEC: D3D700BC 0EF3291C
	v_mfma_i32_16x16x32_i8 v[188:191], a[30:31], v[150:151], v[188:191]// 000000008AF4: D3D700BC 0EF32D1E
	s_waitcnt vmcnt(29)                                        // 000000008AFC: BF8C4F7D
	v_mfma_i32_16x16x32_i8 v[160:163], a[32:33], v[136:137], v[160:163]// 000000008B00: D3D700A0 0E831120
	buffer_load_dwordx4 a[96:99], v36, s[12:15], 0 offen       // 000000008B08: E05C1000 80836024
	v_mfma_i32_16x16x32_i8 v[160:163], a[34:35], v[138:139], v[160:163]// 000000008B10: D3D700A0 0E831522
	v_mfma_i32_16x16x32_i8 v[164:167], a[32:33], v[152:153], v[164:167]// 000000008B18: D3D700A4 0E933120
	v_mfma_i32_16x16x32_i8 v[164:167], a[34:35], v[154:155], v[164:167]// 000000008B20: D3D700A4 0E933522
	v_mfma_i32_16x16x32_i8 v[168:171], a[36:37], v[136:137], v[168:171]// 000000008B28: D3D700A8 0EA31124
	buffer_load_dwordx4 a[100:103], v37, s[12:15], 0 offen     // 000000008B30: E05C1000 80836425
	v_mfma_i32_16x16x32_i8 v[168:171], a[38:39], v[138:139], v[168:171]// 000000008B38: D3D700A8 0EA31526
	v_mfma_i32_16x16x32_i8 v[172:175], a[36:37], v[152:153], v[172:175]// 000000008B40: D3D700AC 0EB33124
	v_mfma_i32_16x16x32_i8 v[172:175], a[38:39], v[154:155], v[172:175]// 000000008B48: D3D700AC 0EB33526
	v_mfma_i32_16x16x32_i8 v[176:179], a[40:41], v[136:137], v[176:179]// 000000008B50: D3D700B0 0EC31128
	buffer_load_dwordx4 a[104:107], v38, s[12:15], 0 offen     // 000000008B58: E05C1000 80836826
	v_mfma_i32_16x16x32_i8 v[176:179], a[42:43], v[138:139], v[176:179]// 000000008B60: D3D700B0 0EC3152A
	v_mfma_i32_16x16x32_i8 v[180:183], a[40:41], v[152:153], v[180:183]// 000000008B68: D3D700B4 0ED33128
	v_mfma_i32_16x16x32_i8 v[180:183], a[42:43], v[154:155], v[180:183]// 000000008B70: D3D700B4 0ED3352A
	v_mfma_i32_16x16x32_i8 v[184:187], a[44:45], v[136:137], v[184:187]// 000000008B78: D3D700B8 0EE3112C
	buffer_load_dwordx4 a[108:111], v39, s[12:15], 0 offen     // 000000008B80: E05C1000 80836C27
	s_add_u32 s12, s78, s12                                    // 000000008B88: 800C0C4E
	s_addc_u32 s13, 0, s13                                     // 000000008B8C: 820D0D80
	v_mfma_i32_16x16x32_i8 v[184:187], a[46:47], v[138:139], v[184:187]// 000000008B90: D3D700B8 0EE3152E
	v_mfma_i32_16x16x32_i8 v[188:191], a[44:45], v[152:153], v[188:191]// 000000008B98: D3D700BC 0EF3312C
	v_mfma_i32_16x16x32_i8 v[188:191], a[46:47], v[154:155], v[188:191]// 000000008BA0: D3D700BC 0EF3352E
	s_waitcnt vmcnt(28)                                        // 000000008BA8: BF8C4F7C
	v_mfma_i32_16x16x32_i8 v[160:163], a[48:49], v[140:141], v[160:163]// 000000008BAC: D3D700A0 0E831930
	buffer_load_dwordx4 a[112:115], v36, s[12:15], 0 offen     // 000000008BB4: E05C1000 80837024
	v_mfma_i32_16x16x32_i8 v[160:163], a[50:51], v[142:143], v[160:163]// 000000008BBC: D3D700A0 0E831D32
	v_mfma_i32_16x16x32_i8 v[164:167], a[48:49], v[156:157], v[164:167]// 000000008BC4: D3D700A4 0E933930
	buffer_load_dword v12, v5, s[16:19], 0 offen               // 000000008BCC: E0501000 80040C05
	v_mfma_i32_16x16x32_i8 v[164:167], a[50:51], v[158:159], v[164:167]// 000000008BD4: D3D700A4 0E933D32
	v_mfma_i32_16x16x32_i8 v[168:171], a[52:53], v[140:141], v[168:171]// 000000008BDC: D3D700A8 0EA31934
	buffer_load_dwordx4 a[116:119], v37, s[12:15], 0 offen     // 000000008BE4: E05C1000 80837425
	v_mfma_i32_16x16x32_i8 v[168:171], a[54:55], v[142:143], v[168:171]// 000000008BEC: D3D700A8 0EA31D36
	v_mfma_i32_16x16x32_i8 v[172:175], a[52:53], v[156:157], v[172:175]// 000000008BF4: D3D700AC 0EB33934
	v_mfma_i32_16x16x32_i8 v[172:175], a[54:55], v[158:159], v[172:175]// 000000008BFC: D3D700AC 0EB33D36
	v_mfma_i32_16x16x32_i8 v[176:179], a[56:57], v[140:141], v[176:179]// 000000008C04: D3D700B0 0EC31938
	buffer_load_dwordx4 a[120:123], v38, s[12:15], 0 offen     // 000000008C0C: E05C1000 80837826
	v_mfma_i32_16x16x32_i8 v[176:179], a[58:59], v[142:143], v[176:179]// 000000008C14: D3D700B0 0EC31D3A
	v_mfma_i32_16x16x32_i8 v[180:183], a[56:57], v[156:157], v[180:183]// 000000008C1C: D3D700B4 0ED33938
	v_mfma_i32_16x16x32_i8 v[180:183], a[58:59], v[158:159], v[180:183]// 000000008C24: D3D700B4 0ED33D3A
	v_mfma_i32_16x16x32_i8 v[184:187], a[60:61], v[140:141], v[184:187]// 000000008C2C: D3D700B8 0EE3193C
	buffer_load_dwordx4 a[124:127], v39, s[12:15], 0 offen     // 000000008C34: E05C1000 80837C27
	v_mfma_i32_16x16x32_i8 v[184:187], a[62:63], v[142:143], v[184:187]// 000000008C3C: D3D700B8 0EE31D3E
	v_mfma_i32_16x16x32_i8 v[188:191], a[60:61], v[156:157], v[188:191]// 000000008C44: D3D700BC 0EF3393C
	v_mfma_i32_16x16x32_i8 v[188:191], a[62:63], v[158:159], v[188:191]// 000000008C4C: D3D700BC 0EF33D3E
	s_add_u32 s60, 0x200, s80                                  // 000000008C54: 803C50FF 00000200
	s_cmp_lt_u32 s60, s81                                      // 000000008C5C: BF0A513C
	s_cselect_b32 s56, s56, 0                                  // 000000008C60: 85388038
	s_cselect_b32 s78, s78, 0                                  // 000000008C64: 854E804E
	s_cselect_b32 s79, s79, 0                                  // 000000008C68: 854F804F
	s_add_u32 s12, s56, s12                                    // 000000008C6C: 800C0C38
	s_addc_u32 s13, 0, s13                                     // 000000008C70: 820D0D80
	s_add_u32 s16, s79, s16                                    // 000000008C74: 8010104F
	s_addc_u32 s17, 0, s17                                     // 000000008C78: 82111180
	v_cvt_f32_i32_e32 v160, v160                               // 000000008C7C: 7F400BA0
	v_cvt_f32_i32_e32 v161, v161                               // 000000008C80: 7F420BA1
	v_cvt_f32_i32_e32 v162, v162                               // 000000008C84: 7F440BA2
	v_cvt_f32_i32_e32 v163, v163                               // 000000008C88: 7F460BA3
	v_mul_f32_e32 v160, v22, v160                              // 000000008C8C: 0B414116
	v_mul_f32_e32 v161, v22, v161                              // 000000008C90: 0B434316
	v_mul_f32_e32 v162, v22, v162                              // 000000008C94: 0B454516
	v_mul_f32_e32 v163, v22, v163                              // 000000008C98: 0B474716
	v_mul_f32_dpp v160, v11, v160 row_newbcast:0 row_mask:0xf bank_mask:0xf// 000000008C9C: 0B4140FA FF01500B
	v_mul_f32_dpp v161, v11, v161 row_newbcast:1 row_mask:0xf bank_mask:0xf// 000000008CA4: 0B4342FA FF01510B
	v_mul_f32_dpp v162, v11, v162 row_newbcast:2 row_mask:0xf bank_mask:0xf// 000000008CAC: 0B4544FA FF01520B
	v_mul_f32_dpp v163, v11, v163 row_newbcast:3 row_mask:0xf bank_mask:0xf// 000000008CB4: 0B4746FA FF01530B
	v_mul_f32_e32 v160, v17, v160                              // 000000008CBC: 0B414111
	v_mul_f32_e32 v161, v17, v161                              // 000000008CC0: 0B434311
	v_mul_f32_e32 v162, v17, v162                              // 000000008CC4: 0B454511
	v_mul_f32_e32 v163, v17, v163                              // 000000008CC8: 0B474711
	v_cvt_f32_i32_e32 v164, v164                               // 000000008CCC: 7F480BA4
	v_cvt_f32_i32_e32 v165, v165                               // 000000008CD0: 7F4A0BA5
	v_cvt_f32_i32_e32 v166, v166                               // 000000008CD4: 7F4C0BA6
	v_cvt_f32_i32_e32 v167, v167                               // 000000008CD8: 7F4E0BA7
	v_mul_f32_e32 v164, v23, v164                              // 000000008CDC: 0B494917
	v_mul_f32_e32 v165, v23, v165                              // 000000008CE0: 0B4B4B17
	v_mul_f32_e32 v166, v23, v166                              // 000000008CE4: 0B4D4D17
	v_mul_f32_e32 v167, v23, v167                              // 000000008CE8: 0B4F4F17
	v_mul_f32_dpp v164, v11, v164 row_newbcast:0 row_mask:0xf bank_mask:0xf// 000000008CEC: 0B4948FA FF01500B
	v_mul_f32_dpp v165, v11, v165 row_newbcast:1 row_mask:0xf bank_mask:0xf// 000000008CF4: 0B4B4AFA FF01510B
	v_mul_f32_dpp v166, v11, v166 row_newbcast:2 row_mask:0xf bank_mask:0xf// 000000008CFC: 0B4D4CFA FF01520B
	v_mul_f32_dpp v167, v11, v167 row_newbcast:3 row_mask:0xf bank_mask:0xf// 000000008D04: 0B4F4EFA FF01530B
	v_mul_f32_e32 v164, v18, v164                              // 000000008D0C: 0B494912
	v_mul_f32_e32 v165, v18, v165                              // 000000008D10: 0B4B4B12
	v_mul_f32_e32 v166, v18, v166                              // 000000008D14: 0B4D4D12
	v_mul_f32_e32 v167, v18, v167                              // 000000008D18: 0B4F4F12
	v_cvt_f32_i32_e32 v168, v168                               // 000000008D1C: 7F500BA8
	v_cvt_f32_i32_e32 v169, v169                               // 000000008D20: 7F520BA9
	v_cvt_f32_i32_e32 v170, v170                               // 000000008D24: 7F540BAA
	v_cvt_f32_i32_e32 v171, v171                               // 000000008D28: 7F560BAB
	v_mul_f32_e32 v168, v22, v168                              // 000000008D2C: 0B515116
	v_mul_f32_e32 v169, v22, v169                              // 000000008D30: 0B535316
	v_mul_f32_e32 v170, v22, v170                              // 000000008D34: 0B555516
	v_mul_f32_e32 v171, v22, v171                              // 000000008D38: 0B575716
	v_mul_f32_dpp v168, v11, v168 row_newbcast:4 row_mask:0xf bank_mask:0xf// 000000008D3C: 0B5150FA FF01540B
	v_mul_f32_dpp v169, v11, v169 row_newbcast:5 row_mask:0xf bank_mask:0xf// 000000008D44: 0B5352FA FF01550B
	v_mul_f32_dpp v170, v11, v170 row_newbcast:6 row_mask:0xf bank_mask:0xf// 000000008D4C: 0B5554FA FF01560B
	v_mul_f32_dpp v171, v11, v171 row_newbcast:7 row_mask:0xf bank_mask:0xf// 000000008D54: 0B5756FA FF01570B
	v_mul_f32_e32 v168, v17, v168                              // 000000008D5C: 0B515111
	v_mul_f32_e32 v169, v17, v169                              // 000000008D60: 0B535311
	v_mul_f32_e32 v170, v17, v170                              // 000000008D64: 0B555511
	v_mul_f32_e32 v171, v17, v171                              // 000000008D68: 0B575711
	v_cvt_f32_i32_e32 v172, v172                               // 000000008D6C: 7F580BAC
	v_cvt_f32_i32_e32 v173, v173                               // 000000008D70: 7F5A0BAD
	v_cvt_f32_i32_e32 v174, v174                               // 000000008D74: 7F5C0BAE
	v_cvt_f32_i32_e32 v175, v175                               // 000000008D78: 7F5E0BAF
	v_mul_f32_e32 v172, v23, v172                              // 000000008D7C: 0B595917
	v_mul_f32_e32 v173, v23, v173                              // 000000008D80: 0B5B5B17
	v_mul_f32_e32 v174, v23, v174                              // 000000008D84: 0B5D5D17
	v_mul_f32_e32 v175, v23, v175                              // 000000008D88: 0B5F5F17
	v_mul_f32_dpp v172, v11, v172 row_newbcast:4 row_mask:0xf bank_mask:0xf// 000000008D8C: 0B5958FA FF01540B
	v_mul_f32_dpp v173, v11, v173 row_newbcast:5 row_mask:0xf bank_mask:0xf// 000000008D94: 0B5B5AFA FF01550B
	v_mul_f32_dpp v174, v11, v174 row_newbcast:6 row_mask:0xf bank_mask:0xf// 000000008D9C: 0B5D5CFA FF01560B
	v_mul_f32_dpp v175, v11, v175 row_newbcast:7 row_mask:0xf bank_mask:0xf// 000000008DA4: 0B5F5EFA FF01570B
	v_mul_f32_e32 v172, v18, v172                              // 000000008DAC: 0B595912
	v_mul_f32_e32 v173, v18, v173                              // 000000008DB0: 0B5B5B12
	v_mul_f32_e32 v174, v18, v174                              // 000000008DB4: 0B5D5D12
	v_mul_f32_e32 v175, v18, v175                              // 000000008DB8: 0B5F5F12
	v_cvt_f32_i32_e32 v176, v176                               // 000000008DBC: 7F600BB0
	v_cvt_f32_i32_e32 v177, v177                               // 000000008DC0: 7F620BB1
	v_cvt_f32_i32_e32 v178, v178                               // 000000008DC4: 7F640BB2
	v_cvt_f32_i32_e32 v179, v179                               // 000000008DC8: 7F660BB3
	v_mul_f32_e32 v176, v22, v176                              // 000000008DCC: 0B616116
	v_mul_f32_e32 v177, v22, v177                              // 000000008DD0: 0B636316
	v_mul_f32_e32 v178, v22, v178                              // 000000008DD4: 0B656516
	v_mul_f32_e32 v179, v22, v179                              // 000000008DD8: 0B676716
	v_mul_f32_dpp v176, v11, v176 row_newbcast:8 row_mask:0xf bank_mask:0xf// 000000008DDC: 0B6160FA FF01580B
	v_mul_f32_dpp v177, v11, v177 row_newbcast:9 row_mask:0xf bank_mask:0xf// 000000008DE4: 0B6362FA FF01590B
	v_mul_f32_dpp v178, v11, v178 row_newbcast:10 row_mask:0xf bank_mask:0xf// 000000008DEC: 0B6564FA FF015A0B
	v_mul_f32_dpp v179, v11, v179 row_newbcast:11 row_mask:0xf bank_mask:0xf// 000000008DF4: 0B6766FA FF015B0B
	v_mul_f32_e32 v176, v17, v176                              // 000000008DFC: 0B616111
	v_mul_f32_e32 v177, v17, v177                              // 000000008E00: 0B636311
	v_mul_f32_e32 v178, v17, v178                              // 000000008E04: 0B656511
	v_mul_f32_e32 v179, v17, v179                              // 000000008E08: 0B676711
	v_cvt_f32_i32_e32 v180, v180                               // 000000008E0C: 7F680BB4
	v_cvt_f32_i32_e32 v181, v181                               // 000000008E10: 7F6A0BB5
	v_cvt_f32_i32_e32 v182, v182                               // 000000008E14: 7F6C0BB6
	v_cvt_f32_i32_e32 v183, v183                               // 000000008E18: 7F6E0BB7
	v_mul_f32_e32 v180, v23, v180                              // 000000008E1C: 0B696917
	v_mul_f32_e32 v181, v23, v181                              // 000000008E20: 0B6B6B17
	v_mul_f32_e32 v182, v23, v182                              // 000000008E24: 0B6D6D17
	v_mul_f32_e32 v183, v23, v183                              // 000000008E28: 0B6F6F17
	v_mul_f32_dpp v180, v11, v180 row_newbcast:8 row_mask:0xf bank_mask:0xf// 000000008E2C: 0B6968FA FF01580B
	v_mul_f32_dpp v181, v11, v181 row_newbcast:9 row_mask:0xf bank_mask:0xf// 000000008E34: 0B6B6AFA FF01590B
	v_mul_f32_dpp v182, v11, v182 row_newbcast:10 row_mask:0xf bank_mask:0xf// 000000008E3C: 0B6D6CFA FF015A0B
	v_mul_f32_dpp v183, v11, v183 row_newbcast:11 row_mask:0xf bank_mask:0xf// 000000008E44: 0B6F6EFA FF015B0B
	v_mul_f32_e32 v180, v18, v180                              // 000000008E4C: 0B696912
	v_mul_f32_e32 v181, v18, v181                              // 000000008E50: 0B6B6B12
	v_mul_f32_e32 v182, v18, v182                              // 000000008E54: 0B6D6D12
	v_mul_f32_e32 v183, v18, v183                              // 000000008E58: 0B6F6F12
	v_cvt_f32_i32_e32 v184, v184                               // 000000008E5C: 7F700BB8
	v_cvt_f32_i32_e32 v185, v185                               // 000000008E60: 7F720BB9
	v_cvt_f32_i32_e32 v186, v186                               // 000000008E64: 7F740BBA
	v_cvt_f32_i32_e32 v187, v187                               // 000000008E68: 7F760BBB
	v_mul_f32_e32 v184, v22, v184                              // 000000008E6C: 0B717116
	v_mul_f32_e32 v185, v22, v185                              // 000000008E70: 0B737316
	v_mul_f32_e32 v186, v22, v186                              // 000000008E74: 0B757516
	v_mul_f32_e32 v187, v22, v187                              // 000000008E78: 0B777716
	v_mul_f32_dpp v184, v11, v184 row_newbcast:12 row_mask:0xf bank_mask:0xf// 000000008E7C: 0B7170FA FF015C0B
	v_mul_f32_dpp v185, v11, v185 row_newbcast:13 row_mask:0xf bank_mask:0xf// 000000008E84: 0B7372FA FF015D0B
	v_mul_f32_dpp v186, v11, v186 row_newbcast:14 row_mask:0xf bank_mask:0xf// 000000008E8C: 0B7574FA FF015E0B
	v_mul_f32_dpp v187, v11, v187 row_newbcast:15 row_mask:0xf bank_mask:0xf// 000000008E94: 0B7776FA FF015F0B
	v_mul_f32_e32 v184, v17, v184                              // 000000008E9C: 0B717111
	v_mul_f32_e32 v185, v17, v185                              // 000000008EA0: 0B737311
	v_mul_f32_e32 v186, v17, v186                              // 000000008EA4: 0B757511
	v_mul_f32_e32 v187, v17, v187                              // 000000008EA8: 0B777711
	v_cvt_f32_i32_e32 v188, v188                               // 000000008EAC: 7F780BBC
	v_cvt_f32_i32_e32 v189, v189                               // 000000008EB0: 7F7A0BBD
	v_cvt_f32_i32_e32 v190, v190                               // 000000008EB4: 7F7C0BBE
	v_cvt_f32_i32_e32 v191, v191                               // 000000008EB8: 7F7E0BBF
	v_mul_f32_e32 v188, v23, v188                              // 000000008EBC: 0B797917
	v_mul_f32_e32 v189, v23, v189                              // 000000008EC0: 0B7B7B17
	v_mul_f32_e32 v190, v23, v190                              // 000000008EC4: 0B7D7D17
	v_mul_f32_e32 v191, v23, v191                              // 000000008EC8: 0B7F7F17
	v_mul_f32_dpp v188, v11, v188 row_newbcast:12 row_mask:0xf bank_mask:0xf// 000000008ECC: 0B7978FA FF015C0B
	v_mul_f32_dpp v189, v11, v189 row_newbcast:13 row_mask:0xf bank_mask:0xf// 000000008ED4: 0B7B7AFA FF015D0B
	v_mul_f32_dpp v190, v11, v190 row_newbcast:14 row_mask:0xf bank_mask:0xf// 000000008EDC: 0B7D7CFA FF015E0B
	v_mul_f32_dpp v191, v11, v191 row_newbcast:15 row_mask:0xf bank_mask:0xf// 000000008EE4: 0B7F7EFA FF015F0B
	v_mul_f32_e32 v188, v18, v188                              // 000000008EEC: 0B797912
	v_mul_f32_e32 v189, v18, v189                              // 000000008EF0: 0B7B7B12
	v_mul_f32_e32 v190, v18, v190                              // 000000008EF4: 0B7D7D12
	v_mul_f32_e32 v191, v18, v191                              // 000000008EF8: 0B7F7F12
	v_cmp_u_f32_e64 s[48:49], v160, v160                       // 000000008EFC: D0480030 000341A0
	v_add3_u32 v40, v160, v43, 1                               // 000000008F04: D1FF0028 020657A0
	v_cndmask_b32_e64 v46, v40, v42, s[48:49]                  // 000000008F0C: D100002E 00C25528
	v_cmp_u_f32_e64 s[48:49], v161, v161                       // 000000008F14: D0480030 000343A1
	v_add3_u32 v40, v161, v43, 1                               // 000000008F1C: D1FF0028 020657A1
	v_cndmask_b32_e64 v47, v40, v42, s[48:49]                  // 000000008F24: D100002F 00C25528
	v_perm_b32 v160, v47, v46, s52                             // 000000008F2C: D1ED00A0 00D25D2F
	v_cmp_u_f32_e64 s[48:49], v162, v162                       // 000000008F34: D0480030 000345A2
	v_add3_u32 v40, v162, v43, 1                               // 000000008F3C: D1FF0028 020657A2
	v_cndmask_b32_e64 v46, v40, v42, s[48:49]                  // 000000008F44: D100002E 00C25528
	v_cmp_u_f32_e64 s[48:49], v163, v163                       // 000000008F4C: D0480030 000347A3
	v_add3_u32 v40, v163, v43, 1                               // 000000008F54: D1FF0028 020657A3
	v_cndmask_b32_e64 v47, v40, v42, s[48:49]                  // 000000008F5C: D100002F 00C25528
	v_perm_b32 v161, v47, v46, s52                             // 000000008F64: D1ED00A1 00D25D2F
	v_cmp_u_f32_e64 s[48:49], v164, v164                       // 000000008F6C: D0480030 000349A4
	v_add3_u32 v40, v164, v43, 1                               // 000000008F74: D1FF0028 020657A4
	v_cndmask_b32_e64 v46, v40, v42, s[48:49]                  // 000000008F7C: D100002E 00C25528
	v_cmp_u_f32_e64 s[48:49], v165, v165                       // 000000008F84: D0480030 00034BA5
	v_add3_u32 v40, v165, v43, 1                               // 000000008F8C: D1FF0028 020657A5
	v_cndmask_b32_e64 v47, v40, v42, s[48:49]                  // 000000008F94: D100002F 00C25528
	v_perm_b32 v162, v47, v46, s52                             // 000000008F9C: D1ED00A2 00D25D2F
	v_cmp_u_f32_e64 s[48:49], v166, v166                       // 000000008FA4: D0480030 00034DA6
	v_add3_u32 v40, v166, v43, 1                               // 000000008FAC: D1FF0028 020657A6
	v_cndmask_b32_e64 v46, v40, v42, s[48:49]                  // 000000008FB4: D100002E 00C25528
	v_cmp_u_f32_e64 s[48:49], v167, v167                       // 000000008FBC: D0480030 00034FA7
	v_add3_u32 v40, v167, v43, 1                               // 000000008FC4: D1FF0028 020657A7
	v_cndmask_b32_e64 v47, v40, v42, s[48:49]                  // 000000008FCC: D100002F 00C25528
	v_perm_b32 v163, v47, v46, s52                             // 000000008FD4: D1ED00A3 00D25D2F
	v_cmp_u_f32_e64 s[48:49], v168, v168                       // 000000008FDC: D0480030 000351A8
	v_add3_u32 v40, v168, v43, 1                               // 000000008FE4: D1FF0028 020657A8
	v_cndmask_b32_e64 v46, v40, v42, s[48:49]                  // 000000008FEC: D100002E 00C25528
	v_cmp_u_f32_e64 s[48:49], v169, v169                       // 000000008FF4: D0480030 000353A9
	v_add3_u32 v40, v169, v43, 1                               // 000000008FFC: D1FF0028 020657A9
	v_cndmask_b32_e64 v47, v40, v42, s[48:49]                  // 000000009004: D100002F 00C25528
	v_perm_b32 v164, v47, v46, s52                             // 00000000900C: D1ED00A4 00D25D2F
	v_cmp_u_f32_e64 s[48:49], v170, v170                       // 000000009014: D0480030 000355AA
	v_add3_u32 v40, v170, v43, 1                               // 00000000901C: D1FF0028 020657AA
	v_cndmask_b32_e64 v46, v40, v42, s[48:49]                  // 000000009024: D100002E 00C25528
	v_cmp_u_f32_e64 s[48:49], v171, v171                       // 00000000902C: D0480030 000357AB
	v_add3_u32 v40, v171, v43, 1                               // 000000009034: D1FF0028 020657AB
	v_cndmask_b32_e64 v47, v40, v42, s[48:49]                  // 00000000903C: D100002F 00C25528
	v_perm_b32 v165, v47, v46, s52                             // 000000009044: D1ED00A5 00D25D2F
	v_cmp_u_f32_e64 s[48:49], v172, v172                       // 00000000904C: D0480030 000359AC
	v_add3_u32 v40, v172, v43, 1                               // 000000009054: D1FF0028 020657AC
	v_cndmask_b32_e64 v46, v40, v42, s[48:49]                  // 00000000905C: D100002E 00C25528
	v_cmp_u_f32_e64 s[48:49], v173, v173                       // 000000009064: D0480030 00035BAD
	v_add3_u32 v40, v173, v43, 1                               // 00000000906C: D1FF0028 020657AD
	v_cndmask_b32_e64 v47, v40, v42, s[48:49]                  // 000000009074: D100002F 00C25528
	v_perm_b32 v166, v47, v46, s52                             // 00000000907C: D1ED00A6 00D25D2F
	v_cmp_u_f32_e64 s[48:49], v174, v174                       // 000000009084: D0480030 00035DAE
	v_add3_u32 v40, v174, v43, 1                               // 00000000908C: D1FF0028 020657AE
	v_cndmask_b32_e64 v46, v40, v42, s[48:49]                  // 000000009094: D100002E 00C25528
	v_cmp_u_f32_e64 s[48:49], v175, v175                       // 00000000909C: D0480030 00035FAF
	v_add3_u32 v40, v175, v43, 1                               // 0000000090A4: D1FF0028 020657AF
	v_cndmask_b32_e64 v47, v40, v42, s[48:49]                  // 0000000090AC: D100002F 00C25528
	v_perm_b32 v167, v47, v46, s52                             // 0000000090B4: D1ED00A7 00D25D2F
	v_cmp_u_f32_e64 s[48:49], v176, v176                       // 0000000090BC: D0480030 000361B0
	v_add3_u32 v40, v176, v43, 1                               // 0000000090C4: D1FF0028 020657B0
	v_cndmask_b32_e64 v46, v40, v42, s[48:49]                  // 0000000090CC: D100002E 00C25528
	v_cmp_u_f32_e64 s[48:49], v177, v177                       // 0000000090D4: D0480030 000363B1
	v_add3_u32 v40, v177, v43, 1                               // 0000000090DC: D1FF0028 020657B1
	v_cndmask_b32_e64 v47, v40, v42, s[48:49]                  // 0000000090E4: D100002F 00C25528
	v_perm_b32 v168, v47, v46, s52                             // 0000000090EC: D1ED00A8 00D25D2F
	v_cmp_u_f32_e64 s[48:49], v178, v178                       // 0000000090F4: D0480030 000365B2
	v_add3_u32 v40, v178, v43, 1                               // 0000000090FC: D1FF0028 020657B2
	v_cndmask_b32_e64 v46, v40, v42, s[48:49]                  // 000000009104: D100002E 00C25528
	v_cmp_u_f32_e64 s[48:49], v179, v179                       // 00000000910C: D0480030 000367B3
	v_add3_u32 v40, v179, v43, 1                               // 000000009114: D1FF0028 020657B3
	v_cndmask_b32_e64 v47, v40, v42, s[48:49]                  // 00000000911C: D100002F 00C25528
	v_perm_b32 v169, v47, v46, s52                             // 000000009124: D1ED00A9 00D25D2F
	v_cmp_u_f32_e64 s[48:49], v180, v180                       // 00000000912C: D0480030 000369B4
	v_add3_u32 v40, v180, v43, 1                               // 000000009134: D1FF0028 020657B4
	v_cndmask_b32_e64 v46, v40, v42, s[48:49]                  // 00000000913C: D100002E 00C25528
	v_cmp_u_f32_e64 s[48:49], v181, v181                       // 000000009144: D0480030 00036BB5
	v_add3_u32 v40, v181, v43, 1                               // 00000000914C: D1FF0028 020657B5
	v_cndmask_b32_e64 v47, v40, v42, s[48:49]                  // 000000009154: D100002F 00C25528
	v_perm_b32 v170, v47, v46, s52                             // 00000000915C: D1ED00AA 00D25D2F
	v_cmp_u_f32_e64 s[48:49], v182, v182                       // 000000009164: D0480030 00036DB6
	v_add3_u32 v40, v182, v43, 1                               // 00000000916C: D1FF0028 020657B6
	v_cndmask_b32_e64 v46, v40, v42, s[48:49]                  // 000000009174: D100002E 00C25528
	v_cmp_u_f32_e64 s[48:49], v183, v183                       // 00000000917C: D0480030 00036FB7
	v_add3_u32 v40, v183, v43, 1                               // 000000009184: D1FF0028 020657B7
	v_cndmask_b32_e64 v47, v40, v42, s[48:49]                  // 00000000918C: D100002F 00C25528
	v_perm_b32 v171, v47, v46, s52                             // 000000009194: D1ED00AB 00D25D2F
	v_cmp_u_f32_e64 s[48:49], v184, v184                       // 00000000919C: D0480030 000371B8
	v_add3_u32 v40, v184, v43, 1                               // 0000000091A4: D1FF0028 020657B8
	v_cndmask_b32_e64 v46, v40, v42, s[48:49]                  // 0000000091AC: D100002E 00C25528
	v_cmp_u_f32_e64 s[48:49], v185, v185                       // 0000000091B4: D0480030 000373B9
	v_add3_u32 v40, v185, v43, 1                               // 0000000091BC: D1FF0028 020657B9
	v_cndmask_b32_e64 v47, v40, v42, s[48:49]                  // 0000000091C4: D100002F 00C25528
	v_perm_b32 v172, v47, v46, s52                             // 0000000091CC: D1ED00AC 00D25D2F
	v_cmp_u_f32_e64 s[48:49], v186, v186                       // 0000000091D4: D0480030 000375BA
	v_add3_u32 v40, v186, v43, 1                               // 0000000091DC: D1FF0028 020657BA
	v_cndmask_b32_e64 v46, v40, v42, s[48:49]                  // 0000000091E4: D100002E 00C25528
	v_cmp_u_f32_e64 s[48:49], v187, v187                       // 0000000091EC: D0480030 000377BB
	v_add3_u32 v40, v187, v43, 1                               // 0000000091F4: D1FF0028 020657BB
	v_cndmask_b32_e64 v47, v40, v42, s[48:49]                  // 0000000091FC: D100002F 00C25528
	v_perm_b32 v173, v47, v46, s52                             // 000000009204: D1ED00AD 00D25D2F
	v_cmp_u_f32_e64 s[48:49], v188, v188                       // 00000000920C: D0480030 000379BC
	v_add3_u32 v40, v188, v43, 1                               // 000000009214: D1FF0028 020657BC
	v_cndmask_b32_e64 v46, v40, v42, s[48:49]                  // 00000000921C: D100002E 00C25528
	v_cmp_u_f32_e64 s[48:49], v189, v189                       // 000000009224: D0480030 00037BBD
	v_add3_u32 v40, v189, v43, 1                               // 00000000922C: D1FF0028 020657BD
	v_cndmask_b32_e64 v47, v40, v42, s[48:49]                  // 000000009234: D100002F 00C25528
	v_perm_b32 v174, v47, v46, s52                             // 00000000923C: D1ED00AE 00D25D2F
	v_cmp_u_f32_e64 s[48:49], v190, v190                       // 000000009244: D0480030 00037DBE
	v_add3_u32 v40, v190, v43, 1                               // 00000000924C: D1FF0028 020657BE
	v_cndmask_b32_e64 v46, v40, v42, s[48:49]                  // 000000009254: D100002E 00C25528
	v_cmp_u_f32_e64 s[48:49], v191, v191                       // 00000000925C: D0480030 00037FBF
	v_add3_u32 v40, v191, v43, 1                               // 000000009264: D1FF0028 020657BF
	v_cndmask_b32_e64 v47, v40, v42, s[48:49]                  // 00000000926C: D100002F 00C25528
	v_perm_b32 v175, v47, v46, s52                             // 000000009274: D1ED00AF 00D25D2F
	ds_write_b64 v3, v[160:161] offset:26880                   // 00000000927C: D89A6900 0000A003
	ds_write_b64 v3, v[162:163] offset:35584                   // 000000009284: D89A8B00 0000A203
	ds_write_b64 v3, v[164:165] offset:29056                   // 00000000928C: D89A7180 0000A403
	ds_write_b64 v3, v[166:167] offset:37760                   // 000000009294: D89A9380 0000A603
	ds_write_b64 v3, v[168:169] offset:31232                   // 00000000929C: D89A7A00 0000A803
	ds_write_b64 v3, v[170:171] offset:39936                   // 0000000092A4: D89A9C00 0000AA03
	ds_write_b64 v3, v[172:173] offset:33408                   // 0000000092AC: D89A8280 0000AC03
	ds_write_b64 v3, v[174:175] offset:42112                   // 0000000092B4: D89AA480 0000AE03
	s_waitcnt lgkmcnt(0)                                       // 0000000092BC: BF8CC07F
	s_barrier                                                  // 0000000092C0: BF8A0000
	ds_read_b32 v64, v4 offset:26880                           // 0000000092C4: D86C6900 40000004
	ds_read_b32 v65, v4 offset:31232                           // 0000000092CC: D86C7A00 41000004
	ds_read_b32 v66, v4 offset:26912                           // 0000000092D4: D86C6920 42000004
	ds_read_b32 v67, v4 offset:31264                           // 0000000092DC: D86C7A20 43000004
	ds_read_b32 v68, v4 offset:26944                           // 0000000092E4: D86C6940 44000004
	ds_read_b32 v69, v4 offset:31296                           // 0000000092EC: D86C7A40 45000004
	ds_read_b32 v70, v4 offset:26976                           // 0000000092F4: D86C6960 46000004
	ds_read_b32 v71, v4 offset:31328                           // 0000000092FC: D86C7A60 47000004
	ds_read_b32 v72, v4 offset:35584                           // 000000009304: D86C8B00 48000004
	ds_read_b32 v73, v4 offset:39936                           // 00000000930C: D86C9C00 49000004
	ds_read_b32 v74, v4 offset:35616                           // 000000009314: D86C8B20 4A000004
	ds_read_b32 v75, v4 offset:39968                           // 00000000931C: D86C9C20 4B000004
	ds_read_b32 v76, v4 offset:35648                           // 000000009324: D86C8B40 4C000004
	ds_read_b32 v77, v4 offset:40000                           // 00000000932C: D86C9C40 4D000004
	ds_read_b32 v78, v4 offset:35680                           // 000000009334: D86C8B60 4E000004
	ds_read_b32 v79, v4 offset:40032                           // 00000000933C: D86C9C60 4F000004
	s_waitcnt lgkmcnt(0)                                       // 000000009344: BF8CC07F
	s_mov_b64 exec, s[20:21]                                   // 000000009348: BEFE0114
	global_atomic_pk_add_bf16 v80, v64, s[8:9]                 // 00000000934C: DD488000 00084050
	s_mov_b64 exec, s[36:37]                                   // 000000009354: BEFE0124
	s_mov_b64 exec, s[20:21]                                   // 000000009358: BEFE0114
	global_atomic_pk_add_bf16 v80, v65, s[8:9] offset:256      // 00000000935C: DD488100 00084150
	s_mov_b64 exec, s[36:37]                                   // 000000009364: BEFE0124
	s_mov_b64 exec, s[22:23]                                   // 000000009368: BEFE0116
	global_atomic_pk_add_bf16 v82, v66, s[8:9]                 // 00000000936C: DD488000 00084252
	s_mov_b64 exec, s[36:37]                                   // 000000009374: BEFE0124
	s_mov_b64 exec, s[22:23]                                   // 000000009378: BEFE0116
	global_atomic_pk_add_bf16 v82, v67, s[8:9] offset:256      // 00000000937C: DD488100 00084352
	s_mov_b64 exec, s[36:37]                                   // 000000009384: BEFE0124
	s_mov_b64 exec, s[24:25]                                   // 000000009388: BEFE0118
	global_atomic_pk_add_bf16 v84, v68, s[8:9]                 // 00000000938C: DD488000 00084454
	s_mov_b64 exec, s[36:37]                                   // 000000009394: BEFE0124
	s_mov_b64 exec, s[24:25]                                   // 000000009398: BEFE0118
	global_atomic_pk_add_bf16 v84, v69, s[8:9] offset:256      // 00000000939C: DD488100 00084554
	s_mov_b64 exec, s[36:37]                                   // 0000000093A4: BEFE0124
	s_mov_b64 exec, s[26:27]                                   // 0000000093A8: BEFE011A
	global_atomic_pk_add_bf16 v86, v70, s[8:9]                 // 0000000093AC: DD488000 00084656
	s_mov_b64 exec, s[36:37]                                   // 0000000093B4: BEFE0124
	s_mov_b64 exec, s[26:27]                                   // 0000000093B8: BEFE011A
	global_atomic_pk_add_bf16 v86, v71, s[8:9] offset:256      // 0000000093BC: DD488100 00084756
	s_mov_b64 exec, s[36:37]                                   // 0000000093C4: BEFE0124
	s_mov_b64 exec, s[28:29]                                   // 0000000093C8: BEFE011C
	global_atomic_pk_add_bf16 v88, v72, s[8:9]                 // 0000000093CC: DD488000 00084858
	s_mov_b64 exec, s[36:37]                                   // 0000000093D4: BEFE0124
	s_mov_b64 exec, s[28:29]                                   // 0000000093D8: BEFE011C
	global_atomic_pk_add_bf16 v88, v73, s[8:9] offset:256      // 0000000093DC: DD488100 00084958
	s_mov_b64 exec, s[36:37]                                   // 0000000093E4: BEFE0124
	s_mov_b64 exec, s[30:31]                                   // 0000000093E8: BEFE011E
	global_atomic_pk_add_bf16 v90, v74, s[8:9]                 // 0000000093EC: DD488000 00084A5A
	s_mov_b64 exec, s[36:37]                                   // 0000000093F4: BEFE0124
	s_mov_b64 exec, s[30:31]                                   // 0000000093F8: BEFE011E
	global_atomic_pk_add_bf16 v90, v75, s[8:9] offset:256      // 0000000093FC: DD488100 00084B5A
	s_mov_b64 exec, s[36:37]                                   // 000000009404: BEFE0124
	s_mov_b64 exec, s[32:33]                                   // 000000009408: BEFE0120
	global_atomic_pk_add_bf16 v92, v76, s[8:9]                 // 00000000940C: DD488000 00084C5C
	s_mov_b64 exec, s[36:37]                                   // 000000009414: BEFE0124
	s_mov_b64 exec, s[32:33]                                   // 000000009418: BEFE0120
	global_atomic_pk_add_bf16 v92, v77, s[8:9] offset:256      // 00000000941C: DD488100 00084D5C
	s_mov_b64 exec, s[36:37]                                   // 000000009424: BEFE0124
	s_mov_b64 exec, s[34:35]                                   // 000000009428: BEFE0122
	global_atomic_pk_add_bf16 v94, v78, s[8:9]                 // 00000000942C: DD488000 00084E5E
	s_mov_b64 exec, s[36:37]                                   // 000000009434: BEFE0124
	s_mov_b64 exec, s[34:35]                                   // 000000009438: BEFE0122
	global_atomic_pk_add_bf16 v94, v79, s[8:9] offset:256      // 00000000943C: DD488100 00084F5E
	s_mov_b64 exec, s[36:37]                                   // 000000009444: BEFE0124
	s_add_u32 s8, s59, s8                                      // 000000009448: 8008083B
	s_addc_u32 s9, 0, s9                                       // 00000000944C: 82090980
	s_addk_i32 s80, 0x100                                      // 000000009450: B7500100
	s_cmp_lt_i32 s80, s81                                      // 000000009454: BF045150
	s_cbranch_scc0 label_0F82                                  // 000000009458: BF84F5EB
	s_waitcnt vmcnt(29)                                        // 00000000945C: BF8C4F7D
	s_barrier                                                  // 000000009460: BF8A0000
	v_mfma_i32_16x16x32_i8 v[192:195], a[64:65], v[128:129], 0 // 000000009464: D3D700C0 0A030140
	buffer_load_dwordx4 a[0:3], v36, s[12:15], 0 offen         // 00000000946C: E05C1000 80830024
	v_mfma_i32_16x16x32_i8 v[192:195], a[66:67], v[130:131], v[192:195]// 000000009474: D3D700C0 0F030542
	v_mfma_i32_16x16x32_i8 v[196:199], a[64:65], v[144:145], 0 // 00000000947C: D3D700C4 0A032140
	v_mfma_i32_16x16x32_i8 v[196:199], a[66:67], v[146:147], v[196:199]// 000000009484: D3D700C4 0F132542
	v_mfma_i32_16x16x32_i8 v[200:203], a[68:69], v[128:129], 0 // 00000000948C: D3D700C8 0A030144
	buffer_load_dwordx4 a[4:7], v37, s[12:15], 0 offen         // 000000009494: E05C1000 80830425
	v_mfma_i32_16x16x32_i8 v[200:203], a[70:71], v[130:131], v[200:203]// 00000000949C: D3D700C8 0F230546
	v_mfma_i32_16x16x32_i8 v[204:207], a[68:69], v[144:145], 0 // 0000000094A4: D3D700CC 0A032144
	v_mfma_i32_16x16x32_i8 v[204:207], a[70:71], v[146:147], v[204:207]// 0000000094AC: D3D700CC 0F332546
	v_mfma_i32_16x16x32_i8 v[208:211], a[72:73], v[128:129], 0 // 0000000094B4: D3D700D0 0A030148
	buffer_load_dwordx4 a[8:11], v38, s[12:15], 0 offen        // 0000000094BC: E05C1000 80830826
	v_mfma_i32_16x16x32_i8 v[208:211], a[74:75], v[130:131], v[208:211]// 0000000094C4: D3D700D0 0F43054A
	v_mfma_i32_16x16x32_i8 v[212:215], a[72:73], v[144:145], 0 // 0000000094CC: D3D700D4 0A032148
	v_mfma_i32_16x16x32_i8 v[212:215], a[74:75], v[146:147], v[212:215]// 0000000094D4: D3D700D4 0F53254A
	v_mfma_i32_16x16x32_i8 v[216:219], a[76:77], v[128:129], 0 // 0000000094DC: D3D700D8 0A03014C
	buffer_load_dwordx4 a[12:15], v39, s[12:15], 0 offen       // 0000000094E4: E05C1000 80830C27
	s_add_u32 s12, s78, s12                                    // 0000000094EC: 800C0C4E
	s_addc_u32 s13, 0, s13                                     // 0000000094F0: 820D0D80
	v_mfma_i32_16x16x32_i8 v[216:219], a[78:79], v[130:131], v[216:219]// 0000000094F4: D3D700D8 0F63054E
	v_mfma_i32_16x16x32_i8 v[220:223], a[76:77], v[144:145], 0 // 0000000094FC: D3D700DC 0A03214C
	v_mfma_i32_16x16x32_i8 v[220:223], a[78:79], v[146:147], v[220:223]// 000000009504: D3D700DC 0F73254E
	s_waitcnt vmcnt(29)                                        // 00000000950C: BF8C4F7D
	v_mfma_i32_16x16x32_i8 v[192:195], a[80:81], v[132:133], v[192:195]// 000000009510: D3D700C0 0F030950
	buffer_load_dwordx4 a[16:19], v36, s[12:15], 0 offen       // 000000009518: E05C1000 80831024
	v_mfma_i32_16x16x32_i8 v[192:195], a[82:83], v[134:135], v[192:195]// 000000009520: D3D700C0 0F030D52
	v_mfma_i32_16x16x32_i8 v[196:199], a[80:81], v[148:149], v[196:199]// 000000009528: D3D700C4 0F132950
	v_mfma_i32_16x16x32_i8 v[196:199], a[82:83], v[150:151], v[196:199]// 000000009530: D3D700C4 0F132D52
	v_mfma_i32_16x16x32_i8 v[200:203], a[84:85], v[132:133], v[200:203]// 000000009538: D3D700C8 0F230954
	buffer_load_dwordx4 a[20:23], v37, s[12:15], 0 offen       // 000000009540: E05C1000 80831425
	v_mfma_i32_16x16x32_i8 v[200:203], a[86:87], v[134:135], v[200:203]// 000000009548: D3D700C8 0F230D56
	v_mfma_i32_16x16x32_i8 v[204:207], a[84:85], v[148:149], v[204:207]// 000000009550: D3D700CC 0F332954
	v_mfma_i32_16x16x32_i8 v[204:207], a[86:87], v[150:151], v[204:207]// 000000009558: D3D700CC 0F332D56
	v_mfma_i32_16x16x32_i8 v[208:211], a[88:89], v[132:133], v[208:211]// 000000009560: D3D700D0 0F430958
	buffer_load_dwordx4 a[24:27], v38, s[12:15], 0 offen       // 000000009568: E05C1000 80831826
	v_mfma_i32_16x16x32_i8 v[208:211], a[90:91], v[134:135], v[208:211]// 000000009570: D3D700D0 0F430D5A
	v_mfma_i32_16x16x32_i8 v[212:215], a[88:89], v[148:149], v[212:215]// 000000009578: D3D700D4 0F532958
	v_mfma_i32_16x16x32_i8 v[212:215], a[90:91], v[150:151], v[212:215]// 000000009580: D3D700D4 0F532D5A
	v_mfma_i32_16x16x32_i8 v[216:219], a[92:93], v[132:133], v[216:219]// 000000009588: D3D700D8 0F63095C
	buffer_load_dwordx4 a[28:31], v39, s[12:15], 0 offen       // 000000009590: E05C1000 80831C27
	s_add_u32 s12, s78, s12                                    // 000000009598: 800C0C4E
	s_addc_u32 s13, 0, s13                                     // 00000000959C: 820D0D80
	v_mfma_i32_16x16x32_i8 v[216:219], a[94:95], v[134:135], v[216:219]// 0000000095A0: D3D700D8 0F630D5E
	v_mfma_i32_16x16x32_i8 v[220:223], a[92:93], v[148:149], v[220:223]// 0000000095A8: D3D700DC 0F73295C
	v_mfma_i32_16x16x32_i8 v[220:223], a[94:95], v[150:151], v[220:223]// 0000000095B0: D3D700DC 0F732D5E
	s_waitcnt vmcnt(29)                                        // 0000000095B8: BF8C4F7D
	v_mfma_i32_16x16x32_i8 v[192:195], a[96:97], v[136:137], v[192:195]// 0000000095BC: D3D700C0 0F031160
	buffer_load_dwordx4 a[32:35], v36, s[12:15], 0 offen       // 0000000095C4: E05C1000 80832024
	v_mfma_i32_16x16x32_i8 v[192:195], a[98:99], v[138:139], v[192:195]// 0000000095CC: D3D700C0 0F031562
	v_mfma_i32_16x16x32_i8 v[196:199], a[96:97], v[152:153], v[196:199]// 0000000095D4: D3D700C4 0F133160
	v_mfma_i32_16x16x32_i8 v[196:199], a[98:99], v[154:155], v[196:199]// 0000000095DC: D3D700C4 0F133562
	v_mfma_i32_16x16x32_i8 v[200:203], a[100:101], v[136:137], v[200:203]// 0000000095E4: D3D700C8 0F231164
	buffer_load_dwordx4 a[36:39], v37, s[12:15], 0 offen       // 0000000095EC: E05C1000 80832425
	v_mfma_i32_16x16x32_i8 v[200:203], a[102:103], v[138:139], v[200:203]// 0000000095F4: D3D700C8 0F231566
	v_mfma_i32_16x16x32_i8 v[204:207], a[100:101], v[152:153], v[204:207]// 0000000095FC: D3D700CC 0F333164
	v_mfma_i32_16x16x32_i8 v[204:207], a[102:103], v[154:155], v[204:207]// 000000009604: D3D700CC 0F333566
	v_mfma_i32_16x16x32_i8 v[208:211], a[104:105], v[136:137], v[208:211]// 00000000960C: D3D700D0 0F431168
	buffer_load_dwordx4 a[40:43], v38, s[12:15], 0 offen       // 000000009614: E05C1000 80832826
	v_mfma_i32_16x16x32_i8 v[208:211], a[106:107], v[138:139], v[208:211]// 00000000961C: D3D700D0 0F43156A
	v_mfma_i32_16x16x32_i8 v[212:215], a[104:105], v[152:153], v[212:215]// 000000009624: D3D700D4 0F533168
	v_mfma_i32_16x16x32_i8 v[212:215], a[106:107], v[154:155], v[212:215]// 00000000962C: D3D700D4 0F53356A
	v_mfma_i32_16x16x32_i8 v[216:219], a[108:109], v[136:137], v[216:219]// 000000009634: D3D700D8 0F63116C
	buffer_load_dwordx4 a[44:47], v39, s[12:15], 0 offen       // 00000000963C: E05C1000 80832C27
	s_add_u32 s12, s78, s12                                    // 000000009644: 800C0C4E
	s_addc_u32 s13, 0, s13                                     // 000000009648: 820D0D80
	v_mfma_i32_16x16x32_i8 v[216:219], a[110:111], v[138:139], v[216:219]// 00000000964C: D3D700D8 0F63156E
	v_mfma_i32_16x16x32_i8 v[220:223], a[108:109], v[152:153], v[220:223]// 000000009654: D3D700DC 0F73316C
	v_mfma_i32_16x16x32_i8 v[220:223], a[110:111], v[154:155], v[220:223]// 00000000965C: D3D700DC 0F73356E
	s_waitcnt vmcnt(28)                                        // 000000009664: BF8C4F7C
	v_mfma_i32_16x16x32_i8 v[192:195], a[112:113], v[140:141], v[192:195]// 000000009668: D3D700C0 0F031970
	buffer_load_dwordx4 a[48:51], v36, s[12:15], 0 offen       // 000000009670: E05C1000 80833024
	v_mfma_i32_16x16x32_i8 v[192:195], a[114:115], v[142:143], v[192:195]// 000000009678: D3D700C0 0F031D72
	v_mfma_i32_16x16x32_i8 v[196:199], a[112:113], v[156:157], v[196:199]// 000000009680: D3D700C4 0F133970
	buffer_load_dword v11, v5, s[16:19], 0 offen               // 000000009688: E0501000 80040B05
	v_mfma_i32_16x16x32_i8 v[196:199], a[114:115], v[158:159], v[196:199]// 000000009690: D3D700C4 0F133D72
	v_mfma_i32_16x16x32_i8 v[200:203], a[116:117], v[140:141], v[200:203]// 000000009698: D3D700C8 0F231974
	buffer_load_dwordx4 a[52:55], v37, s[12:15], 0 offen       // 0000000096A0: E05C1000 80833425
	v_mfma_i32_16x16x32_i8 v[200:203], a[118:119], v[142:143], v[200:203]// 0000000096A8: D3D700C8 0F231D76
	v_mfma_i32_16x16x32_i8 v[204:207], a[116:117], v[156:157], v[204:207]// 0000000096B0: D3D700CC 0F333974
	v_mfma_i32_16x16x32_i8 v[204:207], a[118:119], v[158:159], v[204:207]// 0000000096B8: D3D700CC 0F333D76
	v_mfma_i32_16x16x32_i8 v[208:211], a[120:121], v[140:141], v[208:211]// 0000000096C0: D3D700D0 0F431978
	buffer_load_dwordx4 a[56:59], v38, s[12:15], 0 offen       // 0000000096C8: E05C1000 80833826
	v_mfma_i32_16x16x32_i8 v[208:211], a[122:123], v[142:143], v[208:211]// 0000000096D0: D3D700D0 0F431D7A
	v_mfma_i32_16x16x32_i8 v[212:215], a[120:121], v[156:157], v[212:215]// 0000000096D8: D3D700D4 0F533978
	v_mfma_i32_16x16x32_i8 v[212:215], a[122:123], v[158:159], v[212:215]// 0000000096E0: D3D700D4 0F533D7A
	v_mfma_i32_16x16x32_i8 v[216:219], a[124:125], v[140:141], v[216:219]// 0000000096E8: D3D700D8 0F63197C
	buffer_load_dwordx4 a[60:63], v39, s[12:15], 0 offen       // 0000000096F0: E05C1000 80833C27
	v_mfma_i32_16x16x32_i8 v[216:219], a[126:127], v[142:143], v[216:219]// 0000000096F8: D3D700D8 0F631D7E
	v_mfma_i32_16x16x32_i8 v[220:223], a[124:125], v[156:157], v[220:223]// 000000009700: D3D700DC 0F73397C
	v_mfma_i32_16x16x32_i8 v[220:223], a[126:127], v[158:159], v[220:223]// 000000009708: D3D700DC 0F733D7E
	s_add_u32 s60, 0x200, s80                                  // 000000009710: 803C50FF 00000200
	s_cmp_lt_u32 s60, s81                                      // 000000009718: BF0A513C
	s_cselect_b32 s56, s56, 0                                  // 00000000971C: 85388038
	s_cselect_b32 s78, s78, 0                                  // 000000009720: 854E804E
	s_cselect_b32 s79, s79, 0                                  // 000000009724: 854F804F
	s_add_u32 s12, s56, s12                                    // 000000009728: 800C0C38
	s_addc_u32 s13, 0, s13                                     // 00000000972C: 820D0D80
	s_add_u32 s16, s79, s16                                    // 000000009730: 8010104F
	s_addc_u32 s17, 0, s17                                     // 000000009734: 82111180
	v_cvt_f32_i32_e32 v192, v192                               // 000000009738: 7F800BC0
	v_cvt_f32_i32_e32 v193, v193                               // 00000000973C: 7F820BC1
	v_cvt_f32_i32_e32 v194, v194                               // 000000009740: 7F840BC2
	v_cvt_f32_i32_e32 v195, v195                               // 000000009744: 7F860BC3
	v_mul_f32_e32 v192, v22, v192                              // 000000009748: 0B818116
	v_mul_f32_e32 v193, v22, v193                              // 00000000974C: 0B838316
	v_mul_f32_e32 v194, v22, v194                              // 000000009750: 0B858516
	v_mul_f32_e32 v195, v22, v195                              // 000000009754: 0B878716
	v_mul_f32_dpp v192, v12, v192 row_newbcast:0 row_mask:0xf bank_mask:0xf// 000000009758: 0B8180FA FF01500C
	v_mul_f32_dpp v193, v12, v193 row_newbcast:1 row_mask:0xf bank_mask:0xf// 000000009760: 0B8382FA FF01510C
	v_mul_f32_dpp v194, v12, v194 row_newbcast:2 row_mask:0xf bank_mask:0xf// 000000009768: 0B8584FA FF01520C
	v_mul_f32_dpp v195, v12, v195 row_newbcast:3 row_mask:0xf bank_mask:0xf// 000000009770: 0B8786FA FF01530C
	v_mul_f32_e32 v192, v17, v192                              // 000000009778: 0B818111
	v_mul_f32_e32 v193, v17, v193                              // 00000000977C: 0B838311
	v_mul_f32_e32 v194, v17, v194                              // 000000009780: 0B858511
	v_mul_f32_e32 v195, v17, v195                              // 000000009784: 0B878711
	v_cvt_f32_i32_e32 v196, v196                               // 000000009788: 7F880BC4
	v_cvt_f32_i32_e32 v197, v197                               // 00000000978C: 7F8A0BC5
	v_cvt_f32_i32_e32 v198, v198                               // 000000009790: 7F8C0BC6
	v_cvt_f32_i32_e32 v199, v199                               // 000000009794: 7F8E0BC7
	v_mul_f32_e32 v196, v23, v196                              // 000000009798: 0B898917
	v_mul_f32_e32 v197, v23, v197                              // 00000000979C: 0B8B8B17
	v_mul_f32_e32 v198, v23, v198                              // 0000000097A0: 0B8D8D17
	v_mul_f32_e32 v199, v23, v199                              // 0000000097A4: 0B8F8F17
	v_mul_f32_dpp v196, v12, v196 row_newbcast:0 row_mask:0xf bank_mask:0xf// 0000000097A8: 0B8988FA FF01500C
	v_mul_f32_dpp v197, v12, v197 row_newbcast:1 row_mask:0xf bank_mask:0xf// 0000000097B0: 0B8B8AFA FF01510C
	v_mul_f32_dpp v198, v12, v198 row_newbcast:2 row_mask:0xf bank_mask:0xf// 0000000097B8: 0B8D8CFA FF01520C
	v_mul_f32_dpp v199, v12, v199 row_newbcast:3 row_mask:0xf bank_mask:0xf// 0000000097C0: 0B8F8EFA FF01530C
	v_mul_f32_e32 v196, v18, v196                              // 0000000097C8: 0B898912
	v_mul_f32_e32 v197, v18, v197                              // 0000000097CC: 0B8B8B12
	v_mul_f32_e32 v198, v18, v198                              // 0000000097D0: 0B8D8D12
	v_mul_f32_e32 v199, v18, v199                              // 0000000097D4: 0B8F8F12
	v_cvt_f32_i32_e32 v200, v200                               // 0000000097D8: 7F900BC8
	v_cvt_f32_i32_e32 v201, v201                               // 0000000097DC: 7F920BC9
	v_cvt_f32_i32_e32 v202, v202                               // 0000000097E0: 7F940BCA
	v_cvt_f32_i32_e32 v203, v203                               // 0000000097E4: 7F960BCB
	v_mul_f32_e32 v200, v22, v200                              // 0000000097E8: 0B919116
	v_mul_f32_e32 v201, v22, v201                              // 0000000097EC: 0B939316
	v_mul_f32_e32 v202, v22, v202                              // 0000000097F0: 0B959516
	v_mul_f32_e32 v203, v22, v203                              // 0000000097F4: 0B979716
	v_mul_f32_dpp v200, v12, v200 row_newbcast:4 row_mask:0xf bank_mask:0xf// 0000000097F8: 0B9190FA FF01540C
	v_mul_f32_dpp v201, v12, v201 row_newbcast:5 row_mask:0xf bank_mask:0xf// 000000009800: 0B9392FA FF01550C
	v_mul_f32_dpp v202, v12, v202 row_newbcast:6 row_mask:0xf bank_mask:0xf// 000000009808: 0B9594FA FF01560C
	v_mul_f32_dpp v203, v12, v203 row_newbcast:7 row_mask:0xf bank_mask:0xf// 000000009810: 0B9796FA FF01570C
	v_mul_f32_e32 v200, v17, v200                              // 000000009818: 0B919111
	v_mul_f32_e32 v201, v17, v201                              // 00000000981C: 0B939311
	v_mul_f32_e32 v202, v17, v202                              // 000000009820: 0B959511
	v_mul_f32_e32 v203, v17, v203                              // 000000009824: 0B979711
	v_cvt_f32_i32_e32 v204, v204                               // 000000009828: 7F980BCC
	v_cvt_f32_i32_e32 v205, v205                               // 00000000982C: 7F9A0BCD
	v_cvt_f32_i32_e32 v206, v206                               // 000000009830: 7F9C0BCE
	v_cvt_f32_i32_e32 v207, v207                               // 000000009834: 7F9E0BCF
	v_mul_f32_e32 v204, v23, v204                              // 000000009838: 0B999917
	v_mul_f32_e32 v205, v23, v205                              // 00000000983C: 0B9B9B17
	v_mul_f32_e32 v206, v23, v206                              // 000000009840: 0B9D9D17
	v_mul_f32_e32 v207, v23, v207                              // 000000009844: 0B9F9F17
	v_mul_f32_dpp v204, v12, v204 row_newbcast:4 row_mask:0xf bank_mask:0xf// 000000009848: 0B9998FA FF01540C
	v_mul_f32_dpp v205, v12, v205 row_newbcast:5 row_mask:0xf bank_mask:0xf// 000000009850: 0B9B9AFA FF01550C
	v_mul_f32_dpp v206, v12, v206 row_newbcast:6 row_mask:0xf bank_mask:0xf// 000000009858: 0B9D9CFA FF01560C
	v_mul_f32_dpp v207, v12, v207 row_newbcast:7 row_mask:0xf bank_mask:0xf// 000000009860: 0B9F9EFA FF01570C
	v_mul_f32_e32 v204, v18, v204                              // 000000009868: 0B999912
	v_mul_f32_e32 v205, v18, v205                              // 00000000986C: 0B9B9B12
	v_mul_f32_e32 v206, v18, v206                              // 000000009870: 0B9D9D12
	v_mul_f32_e32 v207, v18, v207                              // 000000009874: 0B9F9F12
	v_cvt_f32_i32_e32 v208, v208                               // 000000009878: 7FA00BD0
	v_cvt_f32_i32_e32 v209, v209                               // 00000000987C: 7FA20BD1
	v_cvt_f32_i32_e32 v210, v210                               // 000000009880: 7FA40BD2
	v_cvt_f32_i32_e32 v211, v211                               // 000000009884: 7FA60BD3
	v_mul_f32_e32 v208, v22, v208                              // 000000009888: 0BA1A116
	v_mul_f32_e32 v209, v22, v209                              // 00000000988C: 0BA3A316
	v_mul_f32_e32 v210, v22, v210                              // 000000009890: 0BA5A516
	v_mul_f32_e32 v211, v22, v211                              // 000000009894: 0BA7A716
	v_mul_f32_dpp v208, v12, v208 row_newbcast:8 row_mask:0xf bank_mask:0xf// 000000009898: 0BA1A0FA FF01580C
	v_mul_f32_dpp v209, v12, v209 row_newbcast:9 row_mask:0xf bank_mask:0xf// 0000000098A0: 0BA3A2FA FF01590C
	v_mul_f32_dpp v210, v12, v210 row_newbcast:10 row_mask:0xf bank_mask:0xf// 0000000098A8: 0BA5A4FA FF015A0C
	v_mul_f32_dpp v211, v12, v211 row_newbcast:11 row_mask:0xf bank_mask:0xf// 0000000098B0: 0BA7A6FA FF015B0C
	v_mul_f32_e32 v208, v17, v208                              // 0000000098B8: 0BA1A111
	v_mul_f32_e32 v209, v17, v209                              // 0000000098BC: 0BA3A311
	v_mul_f32_e32 v210, v17, v210                              // 0000000098C0: 0BA5A511
	v_mul_f32_e32 v211, v17, v211                              // 0000000098C4: 0BA7A711
	v_cvt_f32_i32_e32 v212, v212                               // 0000000098C8: 7FA80BD4
	v_cvt_f32_i32_e32 v213, v213                               // 0000000098CC: 7FAA0BD5
	v_cvt_f32_i32_e32 v214, v214                               // 0000000098D0: 7FAC0BD6
	v_cvt_f32_i32_e32 v215, v215                               // 0000000098D4: 7FAE0BD7
	v_mul_f32_e32 v212, v23, v212                              // 0000000098D8: 0BA9A917
	v_mul_f32_e32 v213, v23, v213                              // 0000000098DC: 0BABAB17
	v_mul_f32_e32 v214, v23, v214                              // 0000000098E0: 0BADAD17
	v_mul_f32_e32 v215, v23, v215                              // 0000000098E4: 0BAFAF17
	v_mul_f32_dpp v212, v12, v212 row_newbcast:8 row_mask:0xf bank_mask:0xf// 0000000098E8: 0BA9A8FA FF01580C
	v_mul_f32_dpp v213, v12, v213 row_newbcast:9 row_mask:0xf bank_mask:0xf// 0000000098F0: 0BABAAFA FF01590C
	v_mul_f32_dpp v214, v12, v214 row_newbcast:10 row_mask:0xf bank_mask:0xf// 0000000098F8: 0BADACFA FF015A0C
	v_mul_f32_dpp v215, v12, v215 row_newbcast:11 row_mask:0xf bank_mask:0xf// 000000009900: 0BAFAEFA FF015B0C
	v_mul_f32_e32 v212, v18, v212                              // 000000009908: 0BA9A912
	v_mul_f32_e32 v213, v18, v213                              // 00000000990C: 0BABAB12
	v_mul_f32_e32 v214, v18, v214                              // 000000009910: 0BADAD12
	v_mul_f32_e32 v215, v18, v215                              // 000000009914: 0BAFAF12
	v_cvt_f32_i32_e32 v216, v216                               // 000000009918: 7FB00BD8
	v_cvt_f32_i32_e32 v217, v217                               // 00000000991C: 7FB20BD9
	v_cvt_f32_i32_e32 v218, v218                               // 000000009920: 7FB40BDA
	v_cvt_f32_i32_e32 v219, v219                               // 000000009924: 7FB60BDB
	v_mul_f32_e32 v216, v22, v216                              // 000000009928: 0BB1B116
	v_mul_f32_e32 v217, v22, v217                              // 00000000992C: 0BB3B316
	v_mul_f32_e32 v218, v22, v218                              // 000000009930: 0BB5B516
	v_mul_f32_e32 v219, v22, v219                              // 000000009934: 0BB7B716
	v_mul_f32_dpp v216, v12, v216 row_newbcast:12 row_mask:0xf bank_mask:0xf// 000000009938: 0BB1B0FA FF015C0C
	v_mul_f32_dpp v217, v12, v217 row_newbcast:13 row_mask:0xf bank_mask:0xf// 000000009940: 0BB3B2FA FF015D0C
	v_mul_f32_dpp v218, v12, v218 row_newbcast:14 row_mask:0xf bank_mask:0xf// 000000009948: 0BB5B4FA FF015E0C
	v_mul_f32_dpp v219, v12, v219 row_newbcast:15 row_mask:0xf bank_mask:0xf// 000000009950: 0BB7B6FA FF015F0C
	v_mul_f32_e32 v216, v17, v216                              // 000000009958: 0BB1B111
	v_mul_f32_e32 v217, v17, v217                              // 00000000995C: 0BB3B311
	v_mul_f32_e32 v218, v17, v218                              // 000000009960: 0BB5B511
	v_mul_f32_e32 v219, v17, v219                              // 000000009964: 0BB7B711
	v_cvt_f32_i32_e32 v220, v220                               // 000000009968: 7FB80BDC
	v_cvt_f32_i32_e32 v221, v221                               // 00000000996C: 7FBA0BDD
	v_cvt_f32_i32_e32 v222, v222                               // 000000009970: 7FBC0BDE
	v_cvt_f32_i32_e32 v223, v223                               // 000000009974: 7FBE0BDF
	v_mul_f32_e32 v220, v23, v220                              // 000000009978: 0BB9B917
	v_mul_f32_e32 v221, v23, v221                              // 00000000997C: 0BBBBB17
	v_mul_f32_e32 v222, v23, v222                              // 000000009980: 0BBDBD17
	v_mul_f32_e32 v223, v23, v223                              // 000000009984: 0BBFBF17
	v_mul_f32_dpp v220, v12, v220 row_newbcast:12 row_mask:0xf bank_mask:0xf// 000000009988: 0BB9B8FA FF015C0C
	v_mul_f32_dpp v221, v12, v221 row_newbcast:13 row_mask:0xf bank_mask:0xf// 000000009990: 0BBBBAFA FF015D0C
	v_mul_f32_dpp v222, v12, v222 row_newbcast:14 row_mask:0xf bank_mask:0xf// 000000009998: 0BBDBCFA FF015E0C
	v_mul_f32_dpp v223, v12, v223 row_newbcast:15 row_mask:0xf bank_mask:0xf// 0000000099A0: 0BBFBEFA FF015F0C
	v_mul_f32_e32 v220, v18, v220                              // 0000000099A8: 0BB9B912
	v_mul_f32_e32 v221, v18, v221                              // 0000000099AC: 0BBBBB12
	v_mul_f32_e32 v222, v18, v222                              // 0000000099B0: 0BBDBD12
	v_mul_f32_e32 v223, v18, v223                              // 0000000099B4: 0BBFBF12
	v_cmp_u_f32_e64 s[48:49], v192, v192                       // 0000000099B8: D0480030 000381C0
	v_add3_u32 v40, v192, v43, 1                               // 0000000099C0: D1FF0028 020657C0
	v_cndmask_b32_e64 v46, v40, v42, s[48:49]                  // 0000000099C8: D100002E 00C25528
	v_cmp_u_f32_e64 s[48:49], v193, v193                       // 0000000099D0: D0480030 000383C1
	v_add3_u32 v40, v193, v43, 1                               // 0000000099D8: D1FF0028 020657C1
	v_cndmask_b32_e64 v47, v40, v42, s[48:49]                  // 0000000099E0: D100002F 00C25528
	v_perm_b32 v192, v47, v46, s52                             // 0000000099E8: D1ED00C0 00D25D2F
	v_cmp_u_f32_e64 s[48:49], v194, v194                       // 0000000099F0: D0480030 000385C2
	v_add3_u32 v40, v194, v43, 1                               // 0000000099F8: D1FF0028 020657C2
	v_cndmask_b32_e64 v46, v40, v42, s[48:49]                  // 000000009A00: D100002E 00C25528
	v_cmp_u_f32_e64 s[48:49], v195, v195                       // 000000009A08: D0480030 000387C3
	v_add3_u32 v40, v195, v43, 1                               // 000000009A10: D1FF0028 020657C3
	v_cndmask_b32_e64 v47, v40, v42, s[48:49]                  // 000000009A18: D100002F 00C25528
	v_perm_b32 v193, v47, v46, s52                             // 000000009A20: D1ED00C1 00D25D2F
	v_cmp_u_f32_e64 s[48:49], v196, v196                       // 000000009A28: D0480030 000389C4
	v_add3_u32 v40, v196, v43, 1                               // 000000009A30: D1FF0028 020657C4
	v_cndmask_b32_e64 v46, v40, v42, s[48:49]                  // 000000009A38: D100002E 00C25528
	v_cmp_u_f32_e64 s[48:49], v197, v197                       // 000000009A40: D0480030 00038BC5
	v_add3_u32 v40, v197, v43, 1                               // 000000009A48: D1FF0028 020657C5
	v_cndmask_b32_e64 v47, v40, v42, s[48:49]                  // 000000009A50: D100002F 00C25528
	v_perm_b32 v194, v47, v46, s52                             // 000000009A58: D1ED00C2 00D25D2F
	v_cmp_u_f32_e64 s[48:49], v198, v198                       // 000000009A60: D0480030 00038DC6
	v_add3_u32 v40, v198, v43, 1                               // 000000009A68: D1FF0028 020657C6
	v_cndmask_b32_e64 v46, v40, v42, s[48:49]                  // 000000009A70: D100002E 00C25528
	v_cmp_u_f32_e64 s[48:49], v199, v199                       // 000000009A78: D0480030 00038FC7
	v_add3_u32 v40, v199, v43, 1                               // 000000009A80: D1FF0028 020657C7
	v_cndmask_b32_e64 v47, v40, v42, s[48:49]                  // 000000009A88: D100002F 00C25528
	v_perm_b32 v195, v47, v46, s52                             // 000000009A90: D1ED00C3 00D25D2F
	v_cmp_u_f32_e64 s[48:49], v200, v200                       // 000000009A98: D0480030 000391C8
	v_add3_u32 v40, v200, v43, 1                               // 000000009AA0: D1FF0028 020657C8
	v_cndmask_b32_e64 v46, v40, v42, s[48:49]                  // 000000009AA8: D100002E 00C25528
	v_cmp_u_f32_e64 s[48:49], v201, v201                       // 000000009AB0: D0480030 000393C9
	v_add3_u32 v40, v201, v43, 1                               // 000000009AB8: D1FF0028 020657C9
	v_cndmask_b32_e64 v47, v40, v42, s[48:49]                  // 000000009AC0: D100002F 00C25528
	v_perm_b32 v196, v47, v46, s52                             // 000000009AC8: D1ED00C4 00D25D2F
	v_cmp_u_f32_e64 s[48:49], v202, v202                       // 000000009AD0: D0480030 000395CA
	v_add3_u32 v40, v202, v43, 1                               // 000000009AD8: D1FF0028 020657CA
	v_cndmask_b32_e64 v46, v40, v42, s[48:49]                  // 000000009AE0: D100002E 00C25528
	v_cmp_u_f32_e64 s[48:49], v203, v203                       // 000000009AE8: D0480030 000397CB
	v_add3_u32 v40, v203, v43, 1                               // 000000009AF0: D1FF0028 020657CB
	v_cndmask_b32_e64 v47, v40, v42, s[48:49]                  // 000000009AF8: D100002F 00C25528
	v_perm_b32 v197, v47, v46, s52                             // 000000009B00: D1ED00C5 00D25D2F
	v_cmp_u_f32_e64 s[48:49], v204, v204                       // 000000009B08: D0480030 000399CC
	v_add3_u32 v40, v204, v43, 1                               // 000000009B10: D1FF0028 020657CC
	v_cndmask_b32_e64 v46, v40, v42, s[48:49]                  // 000000009B18: D100002E 00C25528
	v_cmp_u_f32_e64 s[48:49], v205, v205                       // 000000009B20: D0480030 00039BCD
	v_add3_u32 v40, v205, v43, 1                               // 000000009B28: D1FF0028 020657CD
	v_cndmask_b32_e64 v47, v40, v42, s[48:49]                  // 000000009B30: D100002F 00C25528
	v_perm_b32 v198, v47, v46, s52                             // 000000009B38: D1ED00C6 00D25D2F
	v_cmp_u_f32_e64 s[48:49], v206, v206                       // 000000009B40: D0480030 00039DCE
	v_add3_u32 v40, v206, v43, 1                               // 000000009B48: D1FF0028 020657CE
	v_cndmask_b32_e64 v46, v40, v42, s[48:49]                  // 000000009B50: D100002E 00C25528
	v_cmp_u_f32_e64 s[48:49], v207, v207                       // 000000009B58: D0480030 00039FCF
	v_add3_u32 v40, v207, v43, 1                               // 000000009B60: D1FF0028 020657CF
	v_cndmask_b32_e64 v47, v40, v42, s[48:49]                  // 000000009B68: D100002F 00C25528
	v_perm_b32 v199, v47, v46, s52                             // 000000009B70: D1ED00C7 00D25D2F
	v_cmp_u_f32_e64 s[48:49], v208, v208                       // 000000009B78: D0480030 0003A1D0
	v_add3_u32 v40, v208, v43, 1                               // 000000009B80: D1FF0028 020657D0
	v_cndmask_b32_e64 v46, v40, v42, s[48:49]                  // 000000009B88: D100002E 00C25528
	v_cmp_u_f32_e64 s[48:49], v209, v209                       // 000000009B90: D0480030 0003A3D1
	v_add3_u32 v40, v209, v43, 1                               // 000000009B98: D1FF0028 020657D1
	v_cndmask_b32_e64 v47, v40, v42, s[48:49]                  // 000000009BA0: D100002F 00C25528
	v_perm_b32 v200, v47, v46, s52                             // 000000009BA8: D1ED00C8 00D25D2F
	v_cmp_u_f32_e64 s[48:49], v210, v210                       // 000000009BB0: D0480030 0003A5D2
	v_add3_u32 v40, v210, v43, 1                               // 000000009BB8: D1FF0028 020657D2
	v_cndmask_b32_e64 v46, v40, v42, s[48:49]                  // 000000009BC0: D100002E 00C25528
	v_cmp_u_f32_e64 s[48:49], v211, v211                       // 000000009BC8: D0480030 0003A7D3
	v_add3_u32 v40, v211, v43, 1                               // 000000009BD0: D1FF0028 020657D3
	v_cndmask_b32_e64 v47, v40, v42, s[48:49]                  // 000000009BD8: D100002F 00C25528
	v_perm_b32 v201, v47, v46, s52                             // 000000009BE0: D1ED00C9 00D25D2F
	v_cmp_u_f32_e64 s[48:49], v212, v212                       // 000000009BE8: D0480030 0003A9D4
	v_add3_u32 v40, v212, v43, 1                               // 000000009BF0: D1FF0028 020657D4
	v_cndmask_b32_e64 v46, v40, v42, s[48:49]                  // 000000009BF8: D100002E 00C25528
	v_cmp_u_f32_e64 s[48:49], v213, v213                       // 000000009C00: D0480030 0003ABD5
	v_add3_u32 v40, v213, v43, 1                               // 000000009C08: D1FF0028 020657D5
	v_cndmask_b32_e64 v47, v40, v42, s[48:49]                  // 000000009C10: D100002F 00C25528
	v_perm_b32 v202, v47, v46, s52                             // 000000009C18: D1ED00CA 00D25D2F
	v_cmp_u_f32_e64 s[48:49], v214, v214                       // 000000009C20: D0480030 0003ADD6
	v_add3_u32 v40, v214, v43, 1                               // 000000009C28: D1FF0028 020657D6
	v_cndmask_b32_e64 v46, v40, v42, s[48:49]                  // 000000009C30: D100002E 00C25528
	v_cmp_u_f32_e64 s[48:49], v215, v215                       // 000000009C38: D0480030 0003AFD7
	v_add3_u32 v40, v215, v43, 1                               // 000000009C40: D1FF0028 020657D7
	v_cndmask_b32_e64 v47, v40, v42, s[48:49]                  // 000000009C48: D100002F 00C25528
	v_perm_b32 v203, v47, v46, s52                             // 000000009C50: D1ED00CB 00D25D2F
	v_cmp_u_f32_e64 s[48:49], v216, v216                       // 000000009C58: D0480030 0003B1D8
	v_add3_u32 v40, v216, v43, 1                               // 000000009C60: D1FF0028 020657D8
	v_cndmask_b32_e64 v46, v40, v42, s[48:49]                  // 000000009C68: D100002E 00C25528
	v_cmp_u_f32_e64 s[48:49], v217, v217                       // 000000009C70: D0480030 0003B3D9
	v_add3_u32 v40, v217, v43, 1                               // 000000009C78: D1FF0028 020657D9
	v_cndmask_b32_e64 v47, v40, v42, s[48:49]                  // 000000009C80: D100002F 00C25528
	v_perm_b32 v204, v47, v46, s52                             // 000000009C88: D1ED00CC 00D25D2F
	v_cmp_u_f32_e64 s[48:49], v218, v218                       // 000000009C90: D0480030 0003B5DA
	v_add3_u32 v40, v218, v43, 1                               // 000000009C98: D1FF0028 020657DA
	v_cndmask_b32_e64 v46, v40, v42, s[48:49]                  // 000000009CA0: D100002E 00C25528
	v_cmp_u_f32_e64 s[48:49], v219, v219                       // 000000009CA8: D0480030 0003B7DB
	v_add3_u32 v40, v219, v43, 1                               // 000000009CB0: D1FF0028 020657DB
	v_cndmask_b32_e64 v47, v40, v42, s[48:49]                  // 000000009CB8: D100002F 00C25528
	v_perm_b32 v205, v47, v46, s52                             // 000000009CC0: D1ED00CD 00D25D2F
	v_cmp_u_f32_e64 s[48:49], v220, v220                       // 000000009CC8: D0480030 0003B9DC
	v_add3_u32 v40, v220, v43, 1                               // 000000009CD0: D1FF0028 020657DC
	v_cndmask_b32_e64 v46, v40, v42, s[48:49]                  // 000000009CD8: D100002E 00C25528
	v_cmp_u_f32_e64 s[48:49], v221, v221                       // 000000009CE0: D0480030 0003BBDD
	v_add3_u32 v40, v221, v43, 1                               // 000000009CE8: D1FF0028 020657DD
	v_cndmask_b32_e64 v47, v40, v42, s[48:49]                  // 000000009CF0: D100002F 00C25528
	v_perm_b32 v206, v47, v46, s52                             // 000000009CF8: D1ED00CE 00D25D2F
	v_cmp_u_f32_e64 s[48:49], v222, v222                       // 000000009D00: D0480030 0003BDDE
	v_add3_u32 v40, v222, v43, 1                               // 000000009D08: D1FF0028 020657DE
	v_cndmask_b32_e64 v46, v40, v42, s[48:49]                  // 000000009D10: D100002E 00C25528
	v_cmp_u_f32_e64 s[48:49], v223, v223                       // 000000009D18: D0480030 0003BFDF
	v_add3_u32 v40, v223, v43, 1                               // 000000009D20: D1FF0028 020657DF
	v_cndmask_b32_e64 v47, v40, v42, s[48:49]                  // 000000009D28: D100002F 00C25528
	v_perm_b32 v207, v47, v46, s52                             // 000000009D30: D1ED00CF 00D25D2F
	ds_write_b64 v3, v[192:193] offset:26880                   // 000000009D38: D89A6900 0000C003
	ds_write_b64 v3, v[194:195] offset:35584                   // 000000009D40: D89A8B00 0000C203
	ds_write_b64 v3, v[196:197] offset:29056                   // 000000009D48: D89A7180 0000C403
	ds_write_b64 v3, v[198:199] offset:37760                   // 000000009D50: D89A9380 0000C603
	ds_write_b64 v3, v[200:201] offset:31232                   // 000000009D58: D89A7A00 0000C803
	ds_write_b64 v3, v[202:203] offset:39936                   // 000000009D60: D89A9C00 0000CA03
	ds_write_b64 v3, v[204:205] offset:33408                   // 000000009D68: D89A8280 0000CC03
	ds_write_b64 v3, v[206:207] offset:42112                   // 000000009D70: D89AA480 0000CE03
	s_waitcnt lgkmcnt(0)                                       // 000000009D78: BF8CC07F
	s_barrier                                                  // 000000009D7C: BF8A0000
	ds_read_b32 v64, v4 offset:26880                           // 000000009D80: D86C6900 40000004
	ds_read_b32 v65, v4 offset:31232                           // 000000009D88: D86C7A00 41000004
	ds_read_b32 v66, v4 offset:26912                           // 000000009D90: D86C6920 42000004
	ds_read_b32 v67, v4 offset:31264                           // 000000009D98: D86C7A20 43000004
	ds_read_b32 v68, v4 offset:26944                           // 000000009DA0: D86C6940 44000004
	ds_read_b32 v69, v4 offset:31296                           // 000000009DA8: D86C7A40 45000004
	ds_read_b32 v70, v4 offset:26976                           // 000000009DB0: D86C6960 46000004
	ds_read_b32 v71, v4 offset:31328                           // 000000009DB8: D86C7A60 47000004
	ds_read_b32 v72, v4 offset:35584                           // 000000009DC0: D86C8B00 48000004
	ds_read_b32 v73, v4 offset:39936                           // 000000009DC8: D86C9C00 49000004
	ds_read_b32 v74, v4 offset:35616                           // 000000009DD0: D86C8B20 4A000004
	ds_read_b32 v75, v4 offset:39968                           // 000000009DD8: D86C9C20 4B000004
	ds_read_b32 v76, v4 offset:35648                           // 000000009DE0: D86C8B40 4C000004
	ds_read_b32 v77, v4 offset:40000                           // 000000009DE8: D86C9C40 4D000004
	ds_read_b32 v78, v4 offset:35680                           // 000000009DF0: D86C8B60 4E000004
	ds_read_b32 v79, v4 offset:40032                           // 000000009DF8: D86C9C60 4F000004
	s_waitcnt lgkmcnt(0)                                       // 000000009E00: BF8CC07F
	s_mov_b64 exec, s[20:21]                                   // 000000009E04: BEFE0114
	global_atomic_pk_add_bf16 v80, v64, s[8:9]                 // 000000009E08: DD488000 00084050
	s_mov_b64 exec, s[36:37]                                   // 000000009E10: BEFE0124
	s_mov_b64 exec, s[20:21]                                   // 000000009E14: BEFE0114
	global_atomic_pk_add_bf16 v80, v65, s[8:9] offset:256      // 000000009E18: DD488100 00084150
	s_mov_b64 exec, s[36:37]                                   // 000000009E20: BEFE0124
	s_mov_b64 exec, s[22:23]                                   // 000000009E24: BEFE0116
	global_atomic_pk_add_bf16 v82, v66, s[8:9]                 // 000000009E28: DD488000 00084252
	s_mov_b64 exec, s[36:37]                                   // 000000009E30: BEFE0124
	s_mov_b64 exec, s[22:23]                                   // 000000009E34: BEFE0116
	global_atomic_pk_add_bf16 v82, v67, s[8:9] offset:256      // 000000009E38: DD488100 00084352
	s_mov_b64 exec, s[36:37]                                   // 000000009E40: BEFE0124
	s_mov_b64 exec, s[24:25]                                   // 000000009E44: BEFE0118
	global_atomic_pk_add_bf16 v84, v68, s[8:9]                 // 000000009E48: DD488000 00084454
	s_mov_b64 exec, s[36:37]                                   // 000000009E50: BEFE0124
	s_mov_b64 exec, s[24:25]                                   // 000000009E54: BEFE0118
	global_atomic_pk_add_bf16 v84, v69, s[8:9] offset:256      // 000000009E58: DD488100 00084554
	s_mov_b64 exec, s[36:37]                                   // 000000009E60: BEFE0124
	s_mov_b64 exec, s[26:27]                                   // 000000009E64: BEFE011A
	global_atomic_pk_add_bf16 v86, v70, s[8:9]                 // 000000009E68: DD488000 00084656
	s_mov_b64 exec, s[36:37]                                   // 000000009E70: BEFE0124
	s_mov_b64 exec, s[26:27]                                   // 000000009E74: BEFE011A
	global_atomic_pk_add_bf16 v86, v71, s[8:9] offset:256      // 000000009E78: DD488100 00084756
	s_mov_b64 exec, s[36:37]                                   // 000000009E80: BEFE0124
	s_mov_b64 exec, s[28:29]                                   // 000000009E84: BEFE011C
	global_atomic_pk_add_bf16 v88, v72, s[8:9]                 // 000000009E88: DD488000 00084858
	s_mov_b64 exec, s[36:37]                                   // 000000009E90: BEFE0124
	s_mov_b64 exec, s[28:29]                                   // 000000009E94: BEFE011C
	global_atomic_pk_add_bf16 v88, v73, s[8:9] offset:256      // 000000009E98: DD488100 00084958
	s_mov_b64 exec, s[36:37]                                   // 000000009EA0: BEFE0124
	s_mov_b64 exec, s[30:31]                                   // 000000009EA4: BEFE011E
	global_atomic_pk_add_bf16 v90, v74, s[8:9]                 // 000000009EA8: DD488000 00084A5A
	s_mov_b64 exec, s[36:37]                                   // 000000009EB0: BEFE0124
	s_mov_b64 exec, s[30:31]                                   // 000000009EB4: BEFE011E
	global_atomic_pk_add_bf16 v90, v75, s[8:9] offset:256      // 000000009EB8: DD488100 00084B5A
	s_mov_b64 exec, s[36:37]                                   // 000000009EC0: BEFE0124
	s_mov_b64 exec, s[32:33]                                   // 000000009EC4: BEFE0120
	global_atomic_pk_add_bf16 v92, v76, s[8:9]                 // 000000009EC8: DD488000 00084C5C
	s_mov_b64 exec, s[36:37]                                   // 000000009ED0: BEFE0124
	s_mov_b64 exec, s[32:33]                                   // 000000009ED4: BEFE0120
	global_atomic_pk_add_bf16 v92, v77, s[8:9] offset:256      // 000000009ED8: DD488100 00084D5C
	s_mov_b64 exec, s[36:37]                                   // 000000009EE0: BEFE0124
	s_mov_b64 exec, s[34:35]                                   // 000000009EE4: BEFE0122
	global_atomic_pk_add_bf16 v94, v78, s[8:9]                 // 000000009EE8: DD488000 00084E5E
	s_mov_b64 exec, s[36:37]                                   // 000000009EF0: BEFE0124
	s_mov_b64 exec, s[34:35]                                   // 000000009EF4: BEFE0122
	global_atomic_pk_add_bf16 v94, v79, s[8:9] offset:256      // 000000009EF8: DD488100 00084F5E
	s_mov_b64 exec, s[36:37]                                   // 000000009F00: BEFE0124
	s_add_u32 s8, s59, s8                                      // 000000009F04: 8008083B
	s_addc_u32 s9, 0, s9                                       // 000000009F08: 82090980
	s_addk_i32 s80, 0x100                                      // 000000009F0C: B7500100
	s_cmp_lt_i32 s80, s81                                      // 000000009F10: BF045150
	s_cbranch_scc0 label_0F82                                  // 000000009F14: BF84F33C
	s_branch label_16E8                                        // 000000009F18: BF82FAA1

0000000000009f1c <label_1C47>:
	s_waitcnt vmcnt(0) expcnt(0) lgkmcnt(0)                    // 000000009F1C: BF8C0000
	s_add_u32 s100, s100, 1                                    // 000000009F20: 80648164
	s_cmp_eq_u32 s96, 0                                        // 000000009F24: BF068060
	s_cbranch_scc0 label_0039                                  // 000000009F28: BF84E3EE

0000000000009f2c <label_1C4B>:
	s_waitcnt vmcnt(0) expcnt(0) lgkmcnt(0)                    // 000000009F2C: BF8C0000
	s_endpgm                                                   // 000000009F30: BF810000
